;; amdgpu-corpus repo=ROCm/rocFFT kind=compiled arch=gfx950 opt=O3
	.text
	.amdgcn_target "amdgcn-amd-amdhsa--gfx950"
	.amdhsa_code_object_version 6
	.protected	bluestein_single_fwd_len2023_dim1_sp_op_CI_CI ; -- Begin function bluestein_single_fwd_len2023_dim1_sp_op_CI_CI
	.globl	bluestein_single_fwd_len2023_dim1_sp_op_CI_CI
	.p2align	8
	.type	bluestein_single_fwd_len2023_dim1_sp_op_CI_CI,@function
bluestein_single_fwd_len2023_dim1_sp_op_CI_CI: ; @bluestein_single_fwd_len2023_dim1_sp_op_CI_CI
; %bb.0:
	s_load_dwordx4 s[12:15], s[0:1], 0x28
	v_mul_u32_u24_e32 v1, 0x227, v0
	v_add_u32_sdwa v8, s2, v1 dst_sel:DWORD dst_unused:UNUSED_PAD src0_sel:DWORD src1_sel:WORD_1
	v_mov_b32_e32 v9, 0
	s_waitcnt lgkmcnt(0)
	v_cmp_gt_u64_e32 vcc, s[12:13], v[8:9]
	s_and_saveexec_b64 s[2:3], vcc
	s_cbranch_execz .LBB0_12
; %bb.1:
	s_load_dwordx4 s[4:7], s[0:1], 0x18
	s_load_dwordx4 s[8:11], s[0:1], 0x0
	v_mov_b32_e32 v2, s14
	v_mov_b32_e32 v3, s15
	s_movk_i32 s2, 0x77
	s_waitcnt lgkmcnt(0)
	s_load_dwordx4 s[12:15], s[4:5], 0x0
	v_mul_lo_u16_sdwa v1, v1, s2 dst_sel:DWORD dst_unused:UNUSED_PAD src0_sel:WORD_1 src1_sel:DWORD
	v_sub_u16_e32 v96, v0, v1
	v_mov_b32_e32 v36, 0x3b8
	v_lshlrev_b32_e32 v218, 3, v96
	s_waitcnt lgkmcnt(0)
	v_mad_u64_u32 v[0:1], s[2:3], s14, v8, 0
	v_mov_b32_e32 v4, v1
	v_mad_u64_u32 v[4:5], s[2:3], s15, v8, v[4:5]
	v_mov_b32_e32 v1, v4
	v_mad_u64_u32 v[4:5], s[2:3], s12, v96, 0
	v_mov_b32_e32 v6, v5
	v_mad_u64_u32 v[6:7], s[2:3], s13, v96, v[6:7]
	v_mov_b32_e32 v5, v6
	v_lshl_add_u64 v[0:1], v[0:1], 3, v[2:3]
	v_lshl_add_u64 v[4:5], v[4:5], 3, v[0:1]
	v_mad_u64_u32 v[12:13], s[2:3], s12, v36, v[4:5]
	s_mul_i32 s2, s13, 0x3b8
	s_nop 0
	v_add_u32_e32 v13, s2, v13
	v_mad_u64_u32 v[14:15], s[4:5], s12, v36, v[12:13]
	v_add_u32_e32 v15, s2, v15
	v_mad_u64_u32 v[16:17], s[4:5], s12, v36, v[14:15]
	;; [unrolled: 2-line block ×3, first 2 shown]
	v_add_u32_e32 v19, s2, v19
	global_load_dwordx2 v[0:1], v[4:5], off
	v_accvgpr_write_b32 a0, v8
	v_mov_b32_e32 v219, v9
	global_load_dwordx2 v[68:69], v218, s[8:9]
	global_load_dwordx2 v[58:59], v218, s[8:9] offset:952
	global_load_dwordx2 v[42:43], v218, s[8:9] offset:1904
	;; [unrolled: 1-line block ×3, first 2 shown]
	global_load_dwordx2 v[10:11], v[12:13], off
	global_load_dwordx2 v[8:9], v[14:15], off
	;; [unrolled: 1-line block ×4, first 2 shown]
	global_load_dwordx2 v[40:41], v218, s[8:9] offset:3808
	v_mad_u64_u32 v[14:15], s[4:5], s12, v36, v[18:19]
	v_add_u32_e32 v15, s2, v15
	v_mad_u64_u32 v[18:19], s[4:5], s12, v36, v[14:15]
	v_add_u32_e32 v19, s2, v19
	global_load_dwordx2 v[12:13], v[14:15], off
	v_lshl_add_u64 v[2:3], s[8:9], 0, v[218:219]
	global_load_dwordx2 v[14:15], v[18:19], off
	v_mad_u64_u32 v[18:19], s[4:5], s12, v36, v[18:19]
	s_movk_i32 s3, 0x1000
	v_add_u32_e32 v19, s2, v19
	v_add_co_u32_e32 v16, vcc, s3, v2
	global_load_dwordx2 v[20:21], v[18:19], off
	v_mad_u64_u32 v[18:19], s[4:5], s12, v36, v[18:19]
	v_addc_co_u32_e32 v17, vcc, 0, v3, vcc
	v_add_u32_e32 v19, s2, v19
	global_load_dwordx2 v[70:71], v[16:17], off offset:664
	global_load_dwordx2 v[22:23], v[18:19], off
	global_load_dwordx2 v[64:65], v[16:17], off offset:1616
	global_load_dwordx2 v[56:57], v[16:17], off offset:2568
	;; [unrolled: 1-line block ×3, first 2 shown]
	v_mad_u64_u32 v[16:17], s[4:5], s12, v36, v[18:19]
	v_add_u32_e32 v17, s2, v17
	global_load_dwordx2 v[18:19], v[16:17], off
	s_movk_i32 s3, 0x2000
	v_mad_u64_u32 v[16:17], s[4:5], s12, v36, v[16:17]
	v_add_co_u32_e32 v24, vcc, s3, v2
	v_add_u32_e32 v17, s2, v17
	s_nop 0
	v_addc_co_u32_e32 v25, vcc, 0, v3, vcc
	global_load_dwordx2 v[26:27], v[16:17], off
	global_load_dwordx2 v[60:61], v[24:25], off offset:376
	v_mad_u64_u32 v[16:17], s[4:5], s12, v36, v[16:17]
	v_add_u32_e32 v17, s2, v17
	global_load_dwordx2 v[28:29], v[16:17], off
	v_mad_u64_u32 v[16:17], s[4:5], s12, v36, v[16:17]
	v_add_u32_e32 v17, s2, v17
	global_load_dwordx2 v[66:67], v[24:25], off offset:1328
	global_load_dwordx2 v[30:31], v[16:17], off
	global_load_dwordx2 v[62:63], v[24:25], off offset:2280
	global_load_dwordx2 v[46:47], v[24:25], off offset:3232
	v_mad_u64_u32 v[16:17], s[4:5], s12, v36, v[16:17]
	v_add_u32_e32 v17, s2, v17
	s_movk_i32 s3, 0x3000
	global_load_dwordx2 v[24:25], v[16:17], off
	v_add_co_u32_e32 v2, vcc, s3, v2
	v_mad_u64_u32 v[16:17], s[4:5], s12, v36, v[16:17]
	s_nop 0
	v_addc_co_u32_e32 v3, vcc, 0, v3, vcc
	v_add_u32_e32 v17, s2, v17
	global_load_dwordx2 v[54:55], v[2:3], off offset:88
	global_load_dwordx2 v[32:33], v[16:17], off
	global_load_dwordx2 v[50:51], v[2:3], off offset:1040
	v_mad_u64_u32 v[16:17], s[4:5], s12, v36, v[16:17]
	v_add_u32_e32 v17, s2, v17
	global_load_dwordx2 v[34:35], v[16:17], off
	global_load_dwordx2 v[48:49], v[2:3], off offset:1992
	v_mad_u64_u32 v[16:17], s[12:13], s12, v36, v[16:17]
	v_add_u32_e32 v17, s2, v17
	s_load_dwordx4 s[4:7], s[6:7], 0x0
	global_load_dwordx2 v[36:37], v[16:17], off
	global_load_dwordx2 v[52:53], v[2:3], off offset:2944
	v_add_u32_e32 v97, 0x2c00, v218
	s_mov_b32 s42, 0xbf2c7751
	s_mov_b32 s2, 0x3f3d2fb0
	s_mov_b32 s48, 0xbf65296c
	s_load_dwordx2 s[12:13], s[0:1], 0x38
	s_mov_b32 s0, 0x3ee437d1
	s_mov_b32 s38, 0xbf7ee86f
	s_waitcnt vmcnt(32)
	v_mul_f32_e32 v2, v1, v69
	v_fmac_f32_e32 v2, v0, v68
	v_mul_f32_e32 v0, v0, v69
	v_fma_f32 v3, v1, v68, -v0
	s_waitcnt vmcnt(28)
	v_mul_f32_e32 v0, v11, v59
	v_mul_f32_e32 v1, v10, v59
	v_fmac_f32_e32 v0, v10, v58
	v_fma_f32 v1, v11, v58, -v1
	ds_write2_b64 v218, v[2:3], v[0:1] offset1:119
	s_waitcnt vmcnt(27)
	v_mul_f32_e32 v0, v9, v43
	v_mul_f32_e32 v1, v8, v43
	s_waitcnt vmcnt(26)
	v_mul_f32_e32 v2, v5, v39
	v_mul_f32_e32 v3, v4, v39
	v_fmac_f32_e32 v0, v8, v42
	v_fma_f32 v1, v9, v42, -v1
	v_fmac_f32_e32 v2, v4, v38
	v_fma_f32 v3, v5, v38, -v3
	v_add_u32_e32 v4, 0x400, v218
	ds_write2_b64 v4, v[0:1], v[2:3] offset0:110 offset1:229
	s_waitcnt vmcnt(24)
	v_mul_f32_e32 v0, v7, v41
	v_mul_f32_e32 v1, v6, v41
	v_fmac_f32_e32 v0, v6, v40
	v_fma_f32 v1, v7, v40, -v1
	v_add_u32_e32 v5, 0xc00, v218
	v_add_u32_e32 v6, 0x1400, v218
	;; [unrolled: 1-line block ×3, first 2 shown]
	s_waitcnt vmcnt(20)
	v_mul_f32_e32 v2, v13, v71
	v_mul_f32_e32 v3, v12, v71
	v_fmac_f32_e32 v2, v12, v70
	v_fma_f32 v3, v13, v70, -v3
	ds_write2_b64 v5, v[0:1], v[2:3] offset0:92 offset1:211
	s_waitcnt vmcnt(18)
	v_mul_f32_e32 v0, v15, v65
	v_mul_f32_e32 v1, v14, v65
	s_waitcnt vmcnt(17)
	v_mul_f32_e32 v2, v21, v57
	v_mul_f32_e32 v3, v20, v57
	v_fmac_f32_e32 v0, v14, v64
	v_fma_f32 v1, v15, v64, -v1
	v_fmac_f32_e32 v2, v20, v56
	v_fma_f32 v3, v21, v56, -v3
	ds_write2_b64 v6, v[0:1], v[2:3] offset0:74 offset1:193
	s_waitcnt vmcnt(16)
	v_mul_f32_e32 v0, v23, v45
	v_mul_f32_e32 v1, v22, v45
	s_waitcnt vmcnt(13)
	v_mul_f32_e32 v2, v19, v61
	v_mul_f32_e32 v3, v18, v61
	v_fmac_f32_e32 v0, v22, v44
	v_fma_f32 v1, v23, v44, -v1
	;; [unrolled: 11-line block ×3, first 2 shown]
	v_fmac_f32_e32 v2, v28, v62
	v_fma_f32 v3, v29, v62, -v3
	v_add_u32_e32 v8, 0x2400, v218
	ds_write2_b64 v8, v[0:1], v[2:3] offset0:38 offset1:157
	s_waitcnt vmcnt(8)
	v_mul_f32_e32 v0, v31, v47
	v_mul_f32_e32 v1, v30, v47
	v_fmac_f32_e32 v0, v30, v46
	s_waitcnt vmcnt(6)
	v_mul_f32_e32 v2, v25, v55
	v_mul_f32_e32 v3, v24, v55
	v_fma_f32 v1, v31, v46, -v1
	v_fmac_f32_e32 v2, v24, v54
	v_fma_f32 v3, v25, v54, -v3
	ds_write2_b64 v97, v[0:1], v[2:3] offset0:20 offset1:139
	s_waitcnt vmcnt(4)
	v_mul_f32_e32 v0, v33, v51
	v_mul_f32_e32 v1, v32, v51
	s_waitcnt vmcnt(2)
	v_mul_f32_e32 v2, v35, v49
	v_mul_f32_e32 v3, v34, v49
	v_fmac_f32_e32 v0, v32, v50
	v_fma_f32 v1, v33, v50, -v1
	v_fmac_f32_e32 v2, v34, v48
	v_fma_f32 v3, v35, v48, -v3
	v_add_u32_e32 v24, 0x3000, v218
	ds_write2_b64 v24, v[0:1], v[2:3] offset0:130 offset1:249
	s_waitcnt vmcnt(0)
	v_mul_f32_e32 v0, v37, v53
	v_mul_f32_e32 v1, v36, v53
	v_accvgpr_write_b32 a4, v38
	v_accvgpr_write_b32 a30, v64
	;; [unrolled: 1-line block ×3, first 2 shown]
	v_fmac_f32_e32 v0, v36, v52
	v_fma_f32 v1, v37, v52, -v1
	v_accvgpr_write_b32 a5, v39
	v_accvgpr_write_b32 a31, v65
	;; [unrolled: 1-line block ×3, first 2 shown]
	ds_write_b64 v218, v[0:1] offset:15232
	s_waitcnt lgkmcnt(0)
	s_barrier
	ds_read2_b64 v[12:15], v7 offset0:56 offset1:175
	ds_read2_b64 v[0:3], v218 offset1:119
	ds_read2_b64 v[28:31], v4 offset0:110 offset1:229
	ds_read2_b64 v[36:39], v5 offset0:92 offset1:211
	;; [unrolled: 1-line block ×6, first 2 shown]
	s_waitcnt lgkmcnt(6)
	v_pk_add_f32 v[24:25], v[0:1], v[2:3]
	v_accvgpr_write_b32 a14, v48
	s_waitcnt lgkmcnt(5)
	v_pk_add_f32 v[24:25], v[24:25], v[28:29]
	v_accvgpr_write_b32 a15, v49
	v_pk_add_f32 v[24:25], v[24:25], v[30:31]
	s_waitcnt lgkmcnt(0)
	v_pk_add_f32 v[26:27], v[28:29], v[6:7] neg_lo:[0,1] neg_hi:[0,1]
	v_pk_add_f32 v[24:25], v[24:25], v[36:37]
	s_mov_b32 s14, 0x3dbcf732
	v_pk_add_f32 v[48:49], v[24:25], v[38:39]
	v_pk_add_f32 v[24:25], v[6:7], v[28:29]
	v_pk_mul_f32 v[28:29], v[26:27], s[42:43] op_sel_hi:[1,0]
	v_accvgpr_write_b32 a8, v42
	v_pk_fma_f32 v[94:95], v[24:25], s[2:3], v[28:29] op_sel:[0,0,1] op_sel_hi:[1,0,0]
	v_pk_fma_f32 v[84:85], v[24:25], s[2:3], v[28:29] op_sel:[0,0,1] op_sel_hi:[1,0,0] neg_lo:[0,0,1] neg_hi:[0,0,1]
	v_pk_add_f32 v[28:29], v[4:5], v[30:31]
	v_pk_add_f32 v[30:31], v[30:31], v[4:5] neg_lo:[0,1] neg_hi:[0,1]
	v_accvgpr_write_b32 a6, v40
	v_pk_mul_f32 v[32:33], v[30:31], s[48:49] op_sel_hi:[1,0]
	s_mov_b32 s18, 0xbf763a35
	v_pk_fma_f32 v[102:103], v[28:29], s[0:1], v[32:33] op_sel:[0,0,1] op_sel_hi:[1,0,0]
	v_pk_fma_f32 v[86:87], v[28:29], s[0:1], v[32:33] op_sel:[0,0,1] op_sel_hi:[1,0,0] neg_lo:[0,0,1] neg_hi:[0,0,1]
	v_pk_add_f32 v[32:33], v[10:11], v[36:37]
	v_pk_add_f32 v[36:37], v[36:37], v[10:11] neg_lo:[0,1] neg_hi:[0,1]
	v_accvgpr_write_b32 a9, v43
	v_pk_mul_f32 v[34:35], v[36:37], s[38:39] op_sel_hi:[1,0]
	v_accvgpr_write_b32 a7, v41
	v_pk_fma_f32 v[110:111], v[32:33], s[14:15], v[34:35] op_sel:[0,0,1] op_sel_hi:[1,0,0]
	v_pk_fma_f32 v[88:89], v[32:33], s[14:15], v[34:35] op_sel:[0,0,1] op_sel_hi:[1,0,0] neg_lo:[0,0,1] neg_hi:[0,0,1]
	v_pk_add_f32 v[34:35], v[8:9], v[38:39]
	v_pk_add_f32 v[38:39], v[38:39], v[8:9] neg_lo:[0,1] neg_hi:[0,1]
	v_accvgpr_write_b32 a10, v44
	s_mov_b32 s16, 0xbe8c1d8e
	v_pk_mul_f32 v[40:41], v[38:39], s[18:19] op_sel_hi:[1,0]
	v_pk_add_f32 v[42:43], v[64:65], v[18:19] neg_lo:[0,1] neg_hi:[0,1]
	s_mov_b32 s26, 0xbf4c4adb
	v_accvgpr_write_b32 a11, v45
	v_pk_fma_f32 v[116:117], v[34:35], s[16:17], v[40:41] op_sel:[0,0,1] op_sel_hi:[1,0,0]
	v_pk_fma_f32 v[90:91], v[34:35], s[16:17], v[40:41] op_sel:[0,0,1] op_sel_hi:[1,0,0] neg_lo:[0,0,1] neg_hi:[0,0,1]
	v_pk_add_f32 v[40:41], v[18:19], v[64:65]
	s_mov_b32 s24, 0xbf1a4643
	v_pk_mul_f32 v[44:45], v[42:43], s[26:27] op_sel_hi:[1,0]
	s_mov_b32 s40, 0xbeb8f4ab
	v_accvgpr_write_b32 a28, v62
	v_accvgpr_write_b32 a16, v50
	v_pk_add_f32 v[22:23], v[12:13], v[14:15] neg_lo:[0,1] neg_hi:[0,1]
	v_pk_fma_f32 v[118:119], v[40:41], s[24:25], v[44:45] op_sel:[0,0,1] op_sel_hi:[1,0,0]
	v_pk_fma_f32 v[112:113], v[40:41], s[24:25], v[44:45] op_sel:[0,0,1] op_sel_hi:[1,0,0] neg_lo:[0,0,1] neg_hi:[0,0,1]
	s_mov_b32 s28, 0x3f6eb680
	v_pk_mul_f32 v[44:45], v[42:43], s[40:41] op_sel_hi:[1,0]
	s_mov_b32 s22, 0xbe3c28d5
	v_accvgpr_write_b32 a29, v63
	v_accvgpr_write_b32 a17, v51
	v_pk_add_f32 v[20:21], v[14:15], v[12:13]
	v_pk_fma_f32 v[62:63], v[40:41], s[28:29], v[44:45] op_sel:[0,0,1] op_sel_hi:[1,0,0]
	v_pk_fma_f32 v[50:51], v[40:41], s[28:29], v[44:45] op_sel:[0,0,1] op_sel_hi:[1,0,0] neg_lo:[0,0,1] neg_hi:[0,0,1]
	s_mov_b32 s20, 0xbf7ba420
	v_pk_mul_f32 v[44:45], v[22:23], s[22:23] op_sel_hi:[1,0]
	s_mov_b32 s50, 0x3f06c442
	v_pk_fma_f32 v[120:121], v[20:21], s[20:21], v[44:45] op_sel:[0,0,1] op_sel_hi:[1,0,0]
	v_pk_fma_f32 v[106:107], v[20:21], s[20:21], v[44:45] op_sel:[0,0,1] op_sel_hi:[1,0,0] neg_lo:[0,0,1] neg_hi:[0,0,1]
	v_pk_mul_f32 v[44:45], v[26:27], s[38:39] op_sel_hi:[1,0]
	ds_read_b64 v[146:147], v218 offset:15232
	v_pk_fma_f32 v[92:93], v[24:25], s[14:15], v[44:45] op_sel:[0,0,1] op_sel_hi:[1,0,0]
	v_pk_fma_f32 v[82:83], v[24:25], s[14:15], v[44:45] op_sel:[0,0,1] op_sel_hi:[1,0,0] neg_lo:[0,0,1] neg_hi:[0,0,1]
	v_pk_mul_f32 v[44:45], v[30:31], s[26:27] op_sel_hi:[1,0]
	s_mov_b32 s30, 0xbf59a7d5
	v_pk_fma_f32 v[98:99], v[28:29], s[24:25], v[44:45] op_sel:[0,0,1] op_sel_hi:[1,0,0]
	v_pk_fma_f32 v[80:81], v[28:29], s[24:25], v[44:45] op_sel:[0,0,1] op_sel_hi:[1,0,0] neg_lo:[0,0,1] neg_hi:[0,0,1]
	v_pk_mul_f32 v[44:45], v[36:37], s[22:23] op_sel_hi:[1,0]
	s_mov_b32 s46, 0x3f763a35
	;; [unrolled: 4-line block ×4, first 2 shown]
	v_pk_fma_f32 v[108:109], v[40:41], s[16:17], v[44:45] op_sel:[0,0,1] op_sel_hi:[1,0,0]
	v_pk_fma_f32 v[74:75], v[40:41], s[16:17], v[44:45] op_sel:[0,0,1] op_sel_hi:[1,0,0] neg_lo:[0,0,1] neg_hi:[0,0,1]
	v_pk_mul_f32 v[44:45], v[22:23], s[36:37] op_sel_hi:[1,0]
	v_pk_add_f32 v[48:49], v[48:49], v[64:65]
	v_accvgpr_write_b32 a34, v68
	v_accvgpr_write_b32 a20, v54
	v_pk_fma_f32 v[114:115], v[20:21], s[28:29], v[44:45] op_sel:[0,0,1] op_sel_hi:[1,0,0]
	v_pk_fma_f32 v[72:73], v[20:21], s[28:29], v[44:45] op_sel:[0,0,1] op_sel_hi:[1,0,0] neg_lo:[0,0,1] neg_hi:[0,0,1]
	v_pk_mul_f32 v[44:45], v[22:23], s[34:35] op_sel_hi:[1,0]
	v_pk_add_f32 v[64:65], v[48:49], v[66:67]
	v_accvgpr_write_b32 a35, v69
	v_accvgpr_write_b32 a12, v46
	;; [unrolled: 1-line block ×3, first 2 shown]
	v_pk_fma_f32 v[68:69], v[20:21], s[30:31], v[44:45] op_sel:[0,0,1] op_sel_hi:[1,0,0]
	v_pk_fma_f32 v[54:55], v[20:21], s[30:31], v[44:45] op_sel:[0,0,1] op_sel_hi:[1,0,0] neg_lo:[0,0,1] neg_hi:[0,0,1]
	v_mul_lo_u16_e32 v44, 17, v96
	s_waitcnt lgkmcnt(0)
	v_pk_add_f32 v[48:49], v[146:147], v[2:3]
	v_pk_add_f32 v[2:3], v[2:3], v[146:147] neg_lo:[0,1] neg_hi:[0,1]
	v_pk_add_f32 v[12:13], v[64:65], v[12:13]
	v_accvgpr_write_b32 a13, v47
	v_lshlrev_b32_e32 v188, 3, v44
	v_pk_add_f32 v[44:45], v[16:17], v[66:67]
	v_pk_add_f32 v[46:47], v[66:67], v[16:17] neg_lo:[0,1] neg_hi:[0,1]
	v_pk_mul_f32 v[66:67], v[2:3], s[40:41] op_sel_hi:[1,0]
	v_pk_add_f32 v[12:13], v[12:13], v[14:15]
	v_pk_fma_f32 v[148:149], v[48:49], s[28:29], v[66:67] op_sel:[0,0,1] op_sel_hi:[1,0,0]
	v_pk_fma_f32 v[150:151], v[48:49], s[28:29], v[66:67] op_sel:[0,0,1] op_sel_hi:[1,0,0] neg_lo:[0,0,1] neg_hi:[0,0,1]
	v_pk_add_f32 v[12:13], v[12:13], v[16:17]
	v_mov_b32_e32 v66, v148
	v_mov_b32_e32 v67, v151
	v_pk_add_f32 v[12:13], v[12:13], v[18:19]
	v_mov_b32_e32 v122, v94
	v_mov_b32_e32 v123, v85
	v_pk_add_f32 v[66:67], v[0:1], v[66:67]
	v_pk_add_f32 v[8:9], v[12:13], v[8:9]
	v_mov_b32_e32 v124, v102
	v_mov_b32_e32 v125, v87
	v_pk_add_f32 v[66:67], v[122:123], v[66:67]
	;; [unrolled: 4-line block ×4, first 2 shown]
	v_pk_add_f32 v[4:5], v[4:5], v[6:7]
	v_pk_mul_f32 v[6:7], v[46:47], s[34:35] op_sel_hi:[1,0]
	v_mov_b32_e32 v130, v118
	v_mov_b32_e32 v131, v113
	v_pk_add_f32 v[66:67], v[128:129], v[66:67]
	v_pk_fma_f32 v[8:9], v[44:45], s[30:31], v[6:7] op_sel:[0,0,1] op_sel_hi:[1,0,0]
	v_pk_fma_f32 v[6:7], v[44:45], s[30:31], v[6:7] op_sel:[0,0,1] op_sel_hi:[1,0,0] neg_lo:[0,0,1] neg_hi:[0,0,1]
	v_pk_mul_f32 v[16:17], v[2:3], s[42:43] op_sel_hi:[1,0]
	v_pk_add_f32 v[66:67], v[130:131], v[66:67]
	v_mov_b32_e32 v10, v8
	v_mov_b32_e32 v11, v7
	v_pk_fma_f32 v[18:19], v[48:49], s[2:3], v[16:17] op_sel:[0,0,1] op_sel_hi:[1,0,0]
	v_pk_fma_f32 v[16:17], v[48:49], s[2:3], v[16:17] op_sel:[0,0,1] op_sel_hi:[1,0,0] neg_lo:[0,0,1] neg_hi:[0,0,1]
	v_pk_add_f32 v[10:11], v[10:11], v[66:67]
	v_mov_b32_e32 v66, v18
	v_mov_b32_e32 v67, v17
	;; [unrolled: 1-line block ×4, first 2 shown]
	v_pk_add_f32 v[66:67], v[0:1], v[66:67]
	v_mov_b32_e32 v136, v98
	v_mov_b32_e32 v137, v81
	v_pk_add_f32 v[66:67], v[134:135], v[66:67]
	v_mov_b32_e32 v132, v120
	v_mov_b32_e32 v133, v107
	;; [unrolled: 1-line block ×4, first 2 shown]
	s_mov_b32 s44, 0x3f65296c
	v_pk_add_f32 v[66:67], v[136:137], v[66:67]
	v_mov_b32_e32 v140, v104
	v_mov_b32_e32 v141, v77
	v_pk_add_f32 v[64:65], v[132:133], v[10:11]
	v_pk_mul_f32 v[10:11], v[46:47], s[44:45] op_sel_hi:[1,0]
	v_pk_add_f32 v[66:67], v[138:139], v[66:67]
	v_mov_b32_e32 v142, v108
	v_mov_b32_e32 v143, v75
	v_pk_fma_f32 v[12:13], v[44:45], s[0:1], v[10:11] op_sel:[0,0,1] op_sel_hi:[1,0,0]
	v_pk_fma_f32 v[10:11], v[44:45], s[0:1], v[10:11] op_sel:[0,0,1] op_sel_hi:[1,0,0] neg_lo:[0,0,1] neg_hi:[0,0,1]
	v_pk_add_f32 v[66:67], v[140:141], v[66:67]
	v_mov_b32_e32 v14, v12
	v_mov_b32_e32 v15, v11
	v_pk_add_f32 v[66:67], v[142:143], v[66:67]
	v_mov_b32_e32 v144, v114
	v_mov_b32_e32 v145, v73
	v_pk_add_f32 v[14:15], v[14:15], v[66:67]
	v_mov_b32_e32 v151, v149
	v_pk_add_f32 v[66:67], v[144:145], v[14:15]
	;; [unrolled: 2-line block ×9, first 2 shown]
	v_pk_add_f32 v[4:5], v[4:5], v[146:147]
	v_pk_add_f32 v[6:7], v[106:107], v[6:7]
	v_mov_b32_e32 v17, v19
	s_barrier
	ds_write2_b64 v188, v[4:5], v[6:7] offset1:1
	v_mov_b32_e32 v83, v93
	v_pk_add_f32 v[4:5], v[0:1], v[16:17]
	v_mov_b32_e32 v81, v99
	v_pk_add_f32 v[4:5], v[82:83], v[4:5]
	v_accvgpr_write_b32 a24, v58
	v_accvgpr_write_b32 a18, v52
	v_mov_b32_e32 v79, v101
	v_pk_add_f32 v[4:5], v[80:81], v[4:5]
	v_accvgpr_write_b32 a25, v59
	v_accvgpr_write_b32 a36, v70
	;; [unrolled: 1-line block ×4, first 2 shown]
	v_mov_b32_e32 v52, v62
	v_mov_b32_e32 v53, v51
	v_pk_mul_f32 v[58:59], v[46:47], s[38:39] op_sel_hi:[1,0]
	v_mov_b32_e32 v77, v105
	v_pk_add_f32 v[4:5], v[78:79], v[4:5]
	v_mov_b32_e32 v51, v63
	v_pk_mul_f32 v[62:63], v[2:3], s[48:49] op_sel_hi:[1,0]
	v_accvgpr_write_b32 a37, v71
	v_accvgpr_write_b32 a23, v57
	;; [unrolled: 1-line block ×3, first 2 shown]
	v_mov_b32_e32 v56, v68
	v_mov_b32_e32 v57, v55
	v_pk_fma_f32 v[70:71], v[44:45], s[14:15], v[58:59] op_sel:[0,0,1] op_sel_hi:[1,0,0]
	v_pk_fma_f32 v[58:59], v[44:45], s[14:15], v[58:59] op_sel:[0,0,1] op_sel_hi:[1,0,0] neg_lo:[0,0,1] neg_hi:[0,0,1]
	v_mov_b32_e32 v75, v109
	v_pk_add_f32 v[4:5], v[76:77], v[4:5]
	v_pk_mul_f32 v[6:7], v[26:27], s[26:27] op_sel_hi:[1,0]
	s_mov_b32 s52, 0x3e3c28d5
	v_mov_b32_e32 v55, v69
	v_pk_fma_f32 v[68:69], v[48:49], s[0:1], v[62:63] op_sel:[0,0,1] op_sel_hi:[1,0,0] neg_lo:[0,0,1] neg_hi:[0,0,1]
	v_pk_fma_f32 v[62:63], v[48:49], s[0:1], v[62:63] op_sel:[0,0,1] op_sel_hi:[1,0,0]
	v_accvgpr_write_b32 a27, v61
	v_mov_b32_e32 v60, v70
	v_mov_b32_e32 v61, v59
	;; [unrolled: 1-line block ×3, first 2 shown]
	v_pk_add_f32 v[4:5], v[74:75], v[4:5]
	v_pk_fma_f32 v[8:9], v[24:25], s[24:25], v[6:7] op_sel:[0,0,1] op_sel_hi:[1,0,0] neg_lo:[0,0,1] neg_hi:[0,0,1]
	v_pk_fma_f32 v[6:7], v[24:25], s[24:25], v[6:7] op_sel:[0,0,1] op_sel_hi:[1,0,0]
	v_pk_mul_f32 v[12:13], v[30:31], s[52:53] op_sel_hi:[1,0]
	v_mov_b32_e32 v59, v71
	v_mov_b32_e32 v70, v68
	;; [unrolled: 1-line block ×4, first 2 shown]
	v_pk_add_f32 v[4:5], v[10:11], v[4:5]
	v_mov_b32_e32 v10, v8
	v_mov_b32_e32 v11, v7
	v_pk_fma_f32 v[14:15], v[28:29], s[20:21], v[12:13] op_sel:[0,0,1] op_sel_hi:[1,0,0] neg_lo:[0,0,1] neg_hi:[0,0,1]
	v_pk_fma_f32 v[12:13], v[28:29], s[20:21], v[12:13] op_sel:[0,0,1] op_sel_hi:[1,0,0]
	v_pk_mul_f32 v[18:19], v[36:37], s[46:47] op_sel_hi:[1,0]
	s_mov_b32 s52, 0x3f2c7751
	v_pk_add_f32 v[70:71], v[0:1], v[70:71]
	v_pk_add_f32 v[4:5], v[72:73], v[4:5]
	v_mov_b32_e32 v16, v14
	v_mov_b32_e32 v17, v13
	v_pk_fma_f32 v[72:73], v[32:33], s[16:17], v[18:19] op_sel:[0,0,1] op_sel_hi:[1,0,0] neg_lo:[0,0,1] neg_hi:[0,0,1]
	v_pk_fma_f32 v[18:19], v[32:33], s[16:17], v[18:19] op_sel:[0,0,1] op_sel_hi:[1,0,0]
	v_pk_mul_f32 v[76:77], v[38:39], s[52:53] op_sel_hi:[1,0]
	v_pk_add_f32 v[10:11], v[10:11], v[70:71]
	v_mov_b32_e32 v63, v69
	v_mov_b32_e32 v74, v72
	;; [unrolled: 1-line block ×3, first 2 shown]
	v_pk_fma_f32 v[78:79], v[34:35], s[2:3], v[76:77] op_sel:[0,0,1] op_sel_hi:[1,0,0] neg_lo:[0,0,1] neg_hi:[0,0,1]
	v_pk_fma_f32 v[76:77], v[34:35], s[2:3], v[76:77] op_sel:[0,0,1] op_sel_hi:[1,0,0]
	v_pk_add_f32 v[10:11], v[16:17], v[10:11]
	v_mov_b32_e32 v7, v9
	v_pk_add_f32 v[8:9], v[0:1], v[62:63]
	v_mov_b32_e32 v80, v78
	v_mov_b32_e32 v81, v77
	;; [unrolled: 1-line block ×3, first 2 shown]
	v_pk_add_f32 v[6:7], v[6:7], v[8:9]
	v_pk_add_f32 v[8:9], v[74:75], v[10:11]
	v_mov_b32_e32 v19, v73
	v_pk_add_f32 v[6:7], v[12:13], v[6:7]
	v_pk_add_f32 v[8:9], v[80:81], v[8:9]
	v_mov_b32_e32 v77, v79
	v_pk_add_f32 v[6:7], v[18:19], v[6:7]
	v_pk_add_f32 v[8:9], v[50:51], v[8:9]
	;; [unrolled: 1-line block ×6, first 2 shown]
	v_pk_mul_f32 v[70:71], v[2:3], s[38:39] op_sel_hi:[1,0]
	v_pk_add_f32 v[6:7], v[60:61], v[6:7]
	ds_write2_b64 v188, v[4:5], v[8:9] offset0:2 offset1:3
	v_pk_mul_f32 v[4:5], v[26:27], s[22:23] op_sel_hi:[1,0]
	v_pk_fma_f32 v[62:63], v[48:49], s[14:15], v[70:71] op_sel:[0,0,1] op_sel_hi:[1,0,0] neg_lo:[0,0,1] neg_hi:[0,0,1]
	v_pk_fma_f32 v[70:71], v[48:49], s[14:15], v[70:71] op_sel:[0,0,1] op_sel_hi:[1,0,0]
	v_pk_add_f32 v[68:69], v[56:57], v[6:7]
	v_pk_fma_f32 v[12:13], v[24:25], s[20:21], v[4:5] op_sel:[0,0,1] op_sel_hi:[1,0,0] neg_lo:[0,0,1] neg_hi:[0,0,1]
	v_pk_fma_f32 v[4:5], v[24:25], s[20:21], v[4:5] op_sel:[0,0,1] op_sel_hi:[1,0,0]
	v_pk_mul_f32 v[6:7], v[30:31], s[46:47] op_sel_hi:[1,0]
	v_mov_b32_e32 v86, v62
	v_mov_b32_e32 v87, v71
	;; [unrolled: 1-line block ×4, first 2 shown]
	v_pk_fma_f32 v[16:17], v[28:29], s[16:17], v[6:7] op_sel:[0,0,1] op_sel_hi:[1,0,0] neg_lo:[0,0,1] neg_hi:[0,0,1]
	v_pk_fma_f32 v[6:7], v[28:29], s[16:17], v[6:7] op_sel:[0,0,1] op_sel_hi:[1,0,0]
	v_pk_mul_f32 v[8:9], v[36:37], s[36:37] op_sel_hi:[1,0]
	v_pk_add_f32 v[86:87], v[0:1], v[86:87]
	v_mov_b32_e32 v74, v16
	v_mov_b32_e32 v75, v7
	v_pk_fma_f32 v[50:51], v[32:33], s[28:29], v[8:9] op_sel:[0,0,1] op_sel_hi:[1,0,0] neg_lo:[0,0,1] neg_hi:[0,0,1]
	v_pk_fma_f32 v[8:9], v[32:33], s[28:29], v[8:9] op_sel:[0,0,1] op_sel_hi:[1,0,0]
	v_pk_mul_f32 v[10:11], v[38:39], s[48:49] op_sel_hi:[1,0]
	v_pk_add_f32 v[72:73], v[72:73], v[86:87]
	v_mov_b32_e32 v76, v50
	v_mov_b32_e32 v77, v9
	v_pk_fma_f32 v[52:53], v[34:35], s[0:1], v[10:11] op_sel:[0,0,1] op_sel_hi:[1,0,0] neg_lo:[0,0,1] neg_hi:[0,0,1]
	v_pk_fma_f32 v[10:11], v[34:35], s[0:1], v[10:11] op_sel:[0,0,1] op_sel_hi:[1,0,0]
	v_pk_mul_f32 v[14:15], v[42:43], s[34:35] op_sel_hi:[1,0]
	s_mov_b32 s54, 0x3f4c4adb
	v_pk_add_f32 v[72:73], v[74:75], v[72:73]
	v_mov_b32_e32 v78, v52
	v_mov_b32_e32 v79, v11
	v_pk_fma_f32 v[56:57], v[40:41], s[30:31], v[14:15] op_sel:[0,0,1] op_sel_hi:[1,0,0] neg_lo:[0,0,1] neg_hi:[0,0,1]
	v_pk_fma_f32 v[14:15], v[40:41], s[30:31], v[14:15] op_sel:[0,0,1] op_sel_hi:[1,0,0]
	v_pk_mul_f32 v[54:55], v[46:47], s[54:55] op_sel_hi:[1,0]
	v_pk_add_f32 v[72:73], v[76:77], v[72:73]
	v_mov_b32_e32 v80, v56
	v_mov_b32_e32 v81, v15
	v_pk_mul_f32 v[18:19], v[22:23], s[52:53] op_sel_hi:[1,0]
	v_pk_fma_f32 v[60:61], v[44:45], s[24:25], v[54:55] op_sel:[0,0,1] op_sel_hi:[1,0,0] neg_lo:[0,0,1] neg_hi:[0,0,1]
	v_pk_fma_f32 v[54:55], v[44:45], s[24:25], v[54:55] op_sel:[0,0,1] op_sel_hi:[1,0,0]
	v_pk_add_f32 v[72:73], v[78:79], v[72:73]
	v_pk_fma_f32 v[58:59], v[20:21], s[2:3], v[18:19] op_sel:[0,0,1] op_sel_hi:[1,0,0] neg_lo:[0,0,1] neg_hi:[0,0,1]
	v_pk_fma_f32 v[18:19], v[20:21], s[2:3], v[18:19] op_sel:[0,0,1] op_sel_hi:[1,0,0]
	v_mov_b32_e32 v84, v60
	v_mov_b32_e32 v85, v55
	v_pk_add_f32 v[72:73], v[80:81], v[72:73]
	v_mov_b32_e32 v82, v58
	v_mov_b32_e32 v83, v19
	v_pk_add_f32 v[72:73], v[84:85], v[72:73]
	v_pk_mul_f32 v[104:105], v[2:3], s[18:19] op_sel_hi:[1,0]
	v_pk_add_f32 v[106:107], v[82:83], v[72:73]
	v_pk_mul_f32 v[72:73], v[26:27], s[50:51] op_sel_hi:[1,0]
	v_pk_fma_f32 v[102:103], v[48:49], s[16:17], v[104:105] op_sel:[0,0,1] op_sel_hi:[1,0,0] neg_lo:[0,0,1] neg_hi:[0,0,1]
	v_pk_fma_f32 v[104:105], v[48:49], s[16:17], v[104:105] op_sel:[0,0,1] op_sel_hi:[1,0,0]
	v_pk_fma_f32 v[80:81], v[24:25], s[30:31], v[72:73] op_sel:[0,0,1] op_sel_hi:[1,0,0] neg_lo:[0,0,1] neg_hi:[0,0,1]
	v_pk_fma_f32 v[72:73], v[24:25], s[30:31], v[72:73] op_sel:[0,0,1] op_sel_hi:[1,0,0]
	v_pk_mul_f32 v[74:75], v[30:31], s[52:53] op_sel_hi:[1,0]
	v_mov_b32_e32 v122, v102
	v_mov_b32_e32 v123, v105
	;; [unrolled: 1-line block ×4, first 2 shown]
	v_pk_fma_f32 v[84:85], v[28:29], s[2:3], v[74:75] op_sel:[0,0,1] op_sel_hi:[1,0,0] neg_lo:[0,0,1] neg_hi:[0,0,1]
	v_pk_fma_f32 v[74:75], v[28:29], s[2:3], v[74:75] op_sel:[0,0,1] op_sel_hi:[1,0,0]
	v_pk_mul_f32 v[76:77], v[36:37], s[48:49] op_sel_hi:[1,0]
	v_pk_add_f32 v[122:123], v[0:1], v[122:123]
	v_mov_b32_e32 v110, v84
	v_mov_b32_e32 v111, v75
	v_pk_fma_f32 v[88:89], v[32:33], s[0:1], v[76:77] op_sel:[0,0,1] op_sel_hi:[1,0,0] neg_lo:[0,0,1] neg_hi:[0,0,1]
	v_pk_fma_f32 v[76:77], v[32:33], s[0:1], v[76:77] op_sel:[0,0,1] op_sel_hi:[1,0,0]
	v_pk_mul_f32 v[78:79], v[38:39], s[22:23] op_sel_hi:[1,0]
	s_mov_b32 s48, 0x3f7ee86f
	v_pk_add_f32 v[108:109], v[108:109], v[122:123]
	v_mov_b32_e32 v112, v88
	v_mov_b32_e32 v113, v77
	v_pk_fma_f32 v[90:91], v[34:35], s[20:21], v[78:79] op_sel:[0,0,1] op_sel_hi:[1,0,0] neg_lo:[0,0,1] neg_hi:[0,0,1]
	v_pk_fma_f32 v[78:79], v[34:35], s[20:21], v[78:79] op_sel:[0,0,1] op_sel_hi:[1,0,0]
	v_pk_mul_f32 v[82:83], v[42:43], s[48:49] op_sel_hi:[1,0]
	v_pk_add_f32 v[108:109], v[110:111], v[108:109]
	v_mov_b32_e32 v114, v90
	v_mov_b32_e32 v115, v79
	v_pk_fma_f32 v[94:95], v[40:41], s[14:15], v[82:83] op_sel:[0,0,1] op_sel_hi:[1,0,0] neg_lo:[0,0,1] neg_hi:[0,0,1]
	v_pk_fma_f32 v[82:83], v[40:41], s[14:15], v[82:83] op_sel:[0,0,1] op_sel_hi:[1,0,0]
	v_pk_mul_f32 v[92:93], v[46:47], s[40:41] op_sel_hi:[1,0]
	v_pk_add_f32 v[108:109], v[112:113], v[108:109]
	v_mov_b32_e32 v116, v94
	v_mov_b32_e32 v117, v83
	v_pk_mul_f32 v[86:87], v[22:23], s[26:27] op_sel_hi:[1,0]
	v_pk_fma_f32 v[100:101], v[44:45], s[28:29], v[92:93] op_sel:[0,0,1] op_sel_hi:[1,0,0] neg_lo:[0,0,1] neg_hi:[0,0,1]
	v_pk_fma_f32 v[92:93], v[44:45], s[28:29], v[92:93] op_sel:[0,0,1] op_sel_hi:[1,0,0]
	v_pk_add_f32 v[108:109], v[114:115], v[108:109]
	v_pk_fma_f32 v[98:99], v[20:21], s[24:25], v[86:87] op_sel:[0,0,1] op_sel_hi:[1,0,0] neg_lo:[0,0,1] neg_hi:[0,0,1]
	v_pk_fma_f32 v[86:87], v[20:21], s[24:25], v[86:87] op_sel:[0,0,1] op_sel_hi:[1,0,0]
	v_mov_b32_e32 v120, v100
	v_mov_b32_e32 v121, v93
	v_pk_add_f32 v[108:109], v[116:117], v[108:109]
	v_mov_b32_e32 v118, v98
	v_mov_b32_e32 v119, v87
	v_pk_add_f32 v[108:109], v[120:121], v[108:109]
	v_pk_mul_f32 v[136:137], v[2:3], s[26:27] op_sel_hi:[1,0]
	v_pk_add_f32 v[108:109], v[118:119], v[108:109]
	ds_write2_b64 v188, v[106:107], v[108:109] offset0:4 offset1:5
	v_pk_mul_f32 v[106:107], v[26:27], s[46:47] op_sel_hi:[1,0]
	v_pk_fma_f32 v[134:135], v[48:49], s[24:25], v[136:137] op_sel:[0,0,1] op_sel_hi:[1,0,0] neg_lo:[0,0,1] neg_hi:[0,0,1]
	v_pk_fma_f32 v[136:137], v[48:49], s[24:25], v[136:137] op_sel:[0,0,1] op_sel_hi:[1,0,0]
	v_pk_fma_f32 v[114:115], v[24:25], s[16:17], v[106:107] op_sel:[0,0,1] op_sel_hi:[1,0,0] neg_lo:[0,0,1] neg_hi:[0,0,1]
	v_pk_fma_f32 v[106:107], v[24:25], s[16:17], v[106:107] op_sel:[0,0,1] op_sel_hi:[1,0,0]
	v_pk_mul_f32 v[108:109], v[30:31], s[40:41] op_sel_hi:[1,0]
	v_mov_b32_e32 v152, v134
	v_mov_b32_e32 v153, v137
	;; [unrolled: 1-line block ×4, first 2 shown]
	v_pk_fma_f32 v[118:119], v[28:29], s[28:29], v[108:109] op_sel:[0,0,1] op_sel_hi:[1,0,0] neg_lo:[0,0,1] neg_hi:[0,0,1]
	v_pk_fma_f32 v[108:109], v[28:29], s[28:29], v[108:109] op_sel:[0,0,1] op_sel_hi:[1,0,0]
	v_pk_mul_f32 v[110:111], v[36:37], s[34:35] op_sel_hi:[1,0]
	v_pk_add_f32 v[152:153], v[0:1], v[152:153]
	v_mov_b32_e32 v140, v118
	v_mov_b32_e32 v141, v109
	v_pk_fma_f32 v[122:123], v[32:33], s[30:31], v[110:111] op_sel:[0,0,1] op_sel_hi:[1,0,0] neg_lo:[0,0,1] neg_hi:[0,0,1]
	v_pk_fma_f32 v[110:111], v[32:33], s[30:31], v[110:111] op_sel:[0,0,1] op_sel_hi:[1,0,0]
	v_pk_mul_f32 v[112:113], v[38:39], s[48:49] op_sel_hi:[1,0]
	v_pk_add_f32 v[138:139], v[138:139], v[152:153]
	v_mov_b32_e32 v142, v122
	v_mov_b32_e32 v143, v111
	;; [unrolled: 6-line block ×4, first 2 shown]
	v_pk_mul_f32 v[120:121], v[22:23], s[44:45] op_sel_hi:[1,0]
	v_pk_fma_f32 v[132:133], v[44:45], s[20:21], v[126:127] op_sel:[0,0,1] op_sel_hi:[1,0,0] neg_lo:[0,0,1] neg_hi:[0,0,1]
	v_pk_fma_f32 v[126:127], v[44:45], s[20:21], v[126:127] op_sel:[0,0,1] op_sel_hi:[1,0,0]
	v_pk_add_f32 v[138:139], v[144:145], v[138:139]
	v_pk_mul_f32 v[182:183], v[2:3], s[34:35] op_sel_hi:[1,0]
	v_pk_fma_f32 v[130:131], v[20:21], s[0:1], v[120:121] op_sel:[0,0,1] op_sel_hi:[1,0,0] neg_lo:[0,0,1] neg_hi:[0,0,1]
	v_pk_fma_f32 v[120:121], v[20:21], s[0:1], v[120:121] op_sel:[0,0,1] op_sel_hi:[1,0,0]
	v_mov_b32_e32 v150, v132
	v_mov_b32_e32 v151, v127
	v_pk_add_f32 v[138:139], v[146:147], v[138:139]
	v_pk_mul_f32 v[140:141], v[26:27], s[44:45] op_sel_hi:[1,0]
	v_pk_fma_f32 v[184:185], v[48:49], s[30:31], v[182:183] op_sel:[0,0,1] op_sel_hi:[1,0,0] neg_lo:[0,0,1] neg_hi:[0,0,1]
	v_pk_fma_f32 v[182:183], v[48:49], s[30:31], v[182:183] op_sel:[0,0,1] op_sel_hi:[1,0,0]
	v_mov_b32_e32 v148, v130
	v_mov_b32_e32 v149, v121
	v_pk_add_f32 v[138:139], v[150:151], v[138:139]
	v_pk_fma_f32 v[142:143], v[24:25], s[0:1], v[140:141] op_sel:[0,0,1] op_sel_hi:[1,0,0] neg_lo:[0,0,1] neg_hi:[0,0,1]
	v_pk_fma_f32 v[140:141], v[24:25], s[0:1], v[140:141] op_sel:[0,0,1] op_sel_hi:[1,0,0]
	v_pk_mul_f32 v[146:147], v[30:31], s[38:39] op_sel_hi:[1,0]
	v_mov_b32_e32 v186, v184
	v_mov_b32_e32 v187, v183
	v_pk_add_f32 v[138:139], v[148:149], v[138:139]
	v_mov_b32_e32 v144, v142
	v_mov_b32_e32 v145, v141
	v_pk_fma_f32 v[148:149], v[28:29], s[14:15], v[146:147] op_sel:[0,0,1] op_sel_hi:[1,0,0] neg_lo:[0,0,1] neg_hi:[0,0,1]
	v_pk_fma_f32 v[146:147], v[28:29], s[14:15], v[146:147] op_sel:[0,0,1] op_sel_hi:[1,0,0]
	v_pk_mul_f32 v[152:153], v[36:37], s[54:55] op_sel_hi:[1,0]
	v_pk_add_f32 v[186:187], v[0:1], v[186:187]
	v_mov_b32_e32 v150, v148
	v_mov_b32_e32 v151, v147
	v_pk_fma_f32 v[154:155], v[32:33], s[24:25], v[152:153] op_sel:[0,0,1] op_sel_hi:[1,0,0] neg_lo:[0,0,1] neg_hi:[0,0,1]
	v_pk_fma_f32 v[152:153], v[32:33], s[24:25], v[152:153] op_sel:[0,0,1] op_sel_hi:[1,0,0]
	v_pk_mul_f32 v[158:159], v[38:39], s[40:41] op_sel_hi:[1,0]
	;; [unrolled: 6-line block ×4, first 2 shown]
	v_pk_add_f32 v[144:145], v[156:157], v[144:145]
	v_mov_b32_e32 v168, v166
	v_mov_b32_e32 v169, v165
	v_pk_mul_f32 v[170:171], v[22:23], s[18:19] op_sel_hi:[1,0]
	v_pk_fma_f32 v[178:179], v[44:45], s[2:3], v[176:177] op_sel:[0,0,1] op_sel_hi:[1,0,0] neg_lo:[0,0,1] neg_hi:[0,0,1]
	v_pk_fma_f32 v[176:177], v[44:45], s[2:3], v[176:177] op_sel:[0,0,1] op_sel_hi:[1,0,0]
	v_pk_add_f32 v[144:145], v[162:163], v[144:145]
	v_pk_fma_f32 v[172:173], v[20:21], s[16:17], v[170:171] op_sel:[0,0,1] op_sel_hi:[1,0,0] neg_lo:[0,0,1] neg_hi:[0,0,1]
	v_pk_fma_f32 v[170:171], v[20:21], s[16:17], v[170:171] op_sel:[0,0,1] op_sel_hi:[1,0,0]
	v_mov_b32_e32 v180, v178
	v_mov_b32_e32 v181, v177
	v_pk_add_f32 v[144:145], v[168:169], v[144:145]
	v_mov_b32_e32 v174, v172
	v_mov_b32_e32 v175, v171
	v_pk_add_f32 v[144:145], v[180:181], v[144:145]
	v_pk_mul_f32 v[2:3], v[2:3], s[22:23] op_sel_hi:[1,0]
	v_pk_add_f32 v[144:145], v[174:175], v[144:145]
	v_pk_mul_f32 v[26:27], v[26:27], s[36:37] op_sel_hi:[1,0]
	v_pk_fma_f32 v[180:181], v[48:49], s[20:21], v[2:3] op_sel:[0,0,1] op_sel_hi:[1,0,0] neg_lo:[0,0,1] neg_hi:[0,0,1]
	v_pk_fma_f32 v[2:3], v[48:49], s[20:21], v[2:3] op_sel:[0,0,1] op_sel_hi:[1,0,0]
	ds_write2_b64 v188, v[138:139], v[144:145] offset0:6 offset1:7
	v_pk_fma_f32 v[138:139], v[24:25], s[28:29], v[26:27] op_sel:[0,0,1] op_sel_hi:[1,0,0] neg_lo:[0,0,1] neg_hi:[0,0,1]
	v_pk_fma_f32 v[24:25], v[24:25], s[28:29], v[26:27] op_sel:[0,0,1] op_sel_hi:[1,0,0]
	v_pk_mul_f32 v[30:31], v[30:31], s[34:35] op_sel_hi:[1,0]
	v_mov_b32_e32 v48, v180
	v_mov_b32_e32 v49, v3
	;; [unrolled: 1-line block ×5, first 2 shown]
	v_pk_fma_f32 v[144:145], v[28:29], s[30:31], v[30:31] op_sel:[0,0,1] op_sel_hi:[1,0,0] neg_lo:[0,0,1] neg_hi:[0,0,1]
	v_pk_fma_f32 v[28:29], v[28:29], s[30:31], v[30:31] op_sel:[0,0,1] op_sel_hi:[1,0,0]
	v_pk_mul_f32 v[36:37], v[36:37], s[52:53] op_sel_hi:[1,0]
	v_pk_add_f32 v[48:49], v[0:1], v[48:49]
	v_mov_b32_e32 v25, v139
	v_pk_add_f32 v[2:3], v[0:1], v[2:3]
	v_mov_b32_e32 v30, v144
	v_mov_b32_e32 v31, v29
	v_pk_fma_f32 v[150:151], v[32:33], s[2:3], v[36:37] op_sel:[0,0,1] op_sel_hi:[1,0,0] neg_lo:[0,0,1] neg_hi:[0,0,1]
	v_pk_fma_f32 v[32:33], v[32:33], s[2:3], v[36:37] op_sel:[0,0,1] op_sel_hi:[1,0,0]
	v_pk_mul_f32 v[38:39], v[38:39], s[26:27] op_sel_hi:[1,0]
	v_pk_add_f32 v[26:27], v[26:27], v[48:49]
	v_mov_b32_e32 v29, v145
	v_pk_add_f32 v[2:3], v[24:25], v[2:3]
	v_mov_b32_e32 v36, v150
	v_mov_b32_e32 v37, v33
	;; [unrolled: 8-line block ×4, first 2 shown]
	v_pk_mul_f32 v[22:23], v[22:23], s[48:49] op_sel_hi:[1,0]
	v_pk_fma_f32 v[174:175], v[44:45], s[16:17], v[46:47] op_sel:[0,0,1] op_sel_hi:[1,0,0] neg_lo:[0,0,1] neg_hi:[0,0,1]
	v_pk_fma_f32 v[44:45], v[44:45], s[16:17], v[46:47] op_sel:[0,0,1] op_sel_hi:[1,0,0]
	v_pk_add_f32 v[26:27], v[38:39], v[26:27]
	v_mov_b32_e32 v41, v163
	v_pk_add_f32 v[2:3], v[34:35], v[2:3]
	v_pk_fma_f32 v[168:169], v[20:21], s[14:15], v[22:23] op_sel:[0,0,1] op_sel_hi:[1,0,0] neg_lo:[0,0,1] neg_hi:[0,0,1]
	v_pk_fma_f32 v[20:21], v[20:21], s[14:15], v[22:23] op_sel:[0,0,1] op_sel_hi:[1,0,0]
	v_mov_b32_e32 v46, v174
	v_mov_b32_e32 v47, v45
	v_pk_add_f32 v[26:27], v[42:43], v[26:27]
	v_mov_b32_e32 v45, v175
	v_pk_add_f32 v[2:3], v[40:41], v[2:3]
	v_mov_b32_e32 v22, v168
	v_mov_b32_e32 v23, v21
	v_pk_add_f32 v[26:27], v[46:47], v[26:27]
	v_mov_b32_e32 v21, v169
	v_pk_add_f32 v[2:3], v[44:45], v[2:3]
	v_pk_add_f32 v[22:23], v[22:23], v[26:27]
	;; [unrolled: 1-line block ×3, first 2 shown]
	v_mov_b32_e32 v183, v185
	v_mov_b32_e32 v137, v135
	ds_write2_b64 v188, v[22:23], v[2:3] offset0:8 offset1:9
	v_mov_b32_e32 v141, v143
	v_pk_add_f32 v[2:3], v[0:1], v[182:183]
	v_mov_b32_e32 v107, v115
	v_pk_add_f32 v[20:21], v[0:1], v[136:137]
	;; [unrolled: 2-line block ×14, first 2 shown]
	v_pk_add_f32 v[2:3], v[170:171], v[2:3]
	v_pk_add_f32 v[20:21], v[120:121], v[20:21]
	v_mov_b32_e32 v105, v103
	v_mov_b32_e32 v71, v63
	ds_write2_b64 v188, v[2:3], v[20:21] offset0:10 offset1:11
	v_mov_b32_e32 v73, v81
	v_pk_add_f32 v[2:3], v[0:1], v[104:105]
	v_mov_b32_e32 v5, v13
	v_pk_add_f32 v[0:1], v[0:1], v[70:71]
	;; [unrolled: 2-line block ×14, first 2 shown]
	v_pk_add_f32 v[2:3], v[86:87], v[2:3]
	v_pk_add_f32 v[0:1], v[18:19], v[0:1]
	ds_write2_b64 v188, v[2:3], v[0:1] offset0:12 offset1:13
	ds_write2_b64 v188, v[68:69], v[66:67] offset0:14 offset1:15
	v_add_u32_e32 v0, 0x1000, v218
	ds_write_b64 v188, v[64:65] offset:128
	s_waitcnt lgkmcnt(0)
	s_barrier
	ds_read2_b64 v[52:55], v0 offset0:66 offset1:185
	v_add_u32_e32 v0, 0x1800, v218
	ds_read2_b64 v[40:43], v0 offset0:99 offset1:218
	v_add_u32_e32 v0, 0x2000, v218
	ds_read2_b64 v[28:31], v218 offset1:119
	ds_read2_b64 v[56:59], v0 offset0:132 offset1:251
	ds_read2_b64 v[48:51], v97 offset0:37 offset1:156
	v_add_u32_e32 v0, 0x800, v218
	ds_read2_b64 v[60:63], v0 offset0:33 offset1:152
	v_add_u32_e32 v0, 0x3400, v218
	ds_read2_b64 v[44:47], v0 offset0:70 offset1:189
	v_accvgpr_write_b32 a1, v188
	v_cmp_lt_u16_e64 s[0:1], 50, v96
	v_cmp_gt_u16_e32 vcc, 51, v96
                                        ; implicit-def: $vgpr0
                                        ; implicit-def: $vgpr8
                                        ; implicit-def: $vgpr2
                                        ; implicit-def: $vgpr10
                                        ; implicit-def: $vgpr4
                                        ; implicit-def: $vgpr12
                                        ; implicit-def: $vgpr6
                                        ; implicit-def: $vgpr14
	s_and_saveexec_b64 s[2:3], vcc
	s_cbranch_execz .LBB0_3
; %bb.2:
	ds_read_b64 v[0:1], v218 offset:8840
	ds_read_b64 v[6:7], v218 offset:11152
	;; [unrolled: 1-line block ×7, first 2 shown]
	s_waitcnt lgkmcnt(6)
	v_mov_b32_e32 v8, v1
	s_waitcnt lgkmcnt(4)
	v_mov_b32_e32 v10, v3
	;; [unrolled: 2-line block ×3, first 2 shown]
	v_mov_b32_e32 v14, v7
.LBB0_3:
	s_or_b64 exec, exec, s[2:3]
	s_movk_i32 s2, 0xf1
	v_mul_lo_u16_sdwa v1, v96, s2 dst_sel:DWORD dst_unused:UNUSED_PAD src0_sel:BYTE_0 src1_sel:DWORD
	v_add_u16_e32 v3, 0xee, v96
	v_lshrrev_b16_e32 v16, 12, v1
	v_mul_u32_u24_e32 v5, 0xf0f1, v3
	v_mul_lo_u16_e32 v1, 17, v16
	v_lshrrev_b32_e32 v5, 20, v5
	v_sub_u16_e32 v1, v96, v1
	v_accvgpr_write_b32 a3, v5
	v_mul_lo_u16_e32 v5, 17, v5
	v_and_b32_e32 v17, 0xff, v1
	v_sub_u16_e32 v3, v3, v5
	v_mul_u32_u24_e32 v1, 6, v17
	v_accvgpr_write_b32 a42, v3
	v_mul_lo_u16_e32 v3, 6, v3
	v_lshlrev_b32_e32 v1, 3, v1
	v_lshlrev_b32_e32 v3, 3, v3
	global_load_dwordx4 v[102:105], v1, s[10:11] offset:32
	global_load_dwordx4 v[32:35], v3, s[10:11] offset:16
	global_load_dwordx4 v[36:39], v3, s[10:11]
	global_load_dwordx4 v[114:117], v1, s[10:11] offset:16
	global_load_dwordx4 v[106:109], v1, s[10:11]
	global_load_dwordx4 v[88:91], v3, s[10:11] offset:32
	v_add_u16_e32 v1, 0x77, v96
	v_mul_lo_u16_sdwa v3, v1, s2 dst_sel:DWORD dst_unused:UNUSED_PAD src0_sel:BYTE_0 src1_sel:DWORD
	v_lshrrev_b16_e32 v18, 12, v3
	v_mul_lo_u16_e32 v3, 17, v18
	v_sub_u16_e32 v1, v1, v3
	v_and_b32_e32 v19, 0xff, v1
	v_mul_u32_u24_e32 v1, 6, v19
	v_lshlrev_b32_e32 v1, 3, v1
	global_load_dwordx4 v[110:113], v1, s[10:11] offset:16
	global_load_dwordx4 v[98:101], v1, s[10:11]
	global_load_dwordx4 v[92:95], v1, s[10:11] offset:32
	s_mov_b32 s24, 0x3d64c772
	s_mov_b32 s18, 0x3f4a47b2
	;; [unrolled: 1-line block ×8, first 2 shown]
	s_waitcnt lgkmcnt(0)
	s_barrier
	s_waitcnt vmcnt(7)
	v_pk_mul_f32 v[8:9], v[8:9], v[32:33] op_sel_hi:[0,1]
	s_waitcnt vmcnt(6)
	v_pk_mul_f32 v[20:21], v[66:67], v[36:37] op_sel:[1,0]
	v_pk_mul_f32 v[22:23], v[64:65], v[38:39] op_sel:[1,0]
	v_pk_mul_f32 v[14:15], v[14:15], v[34:35] op_sel_hi:[0,1]
	s_waitcnt vmcnt(3)
	v_pk_mul_f32 v[76:77], v[10:11], v[88:89] op_sel_hi:[0,1]
	v_pk_mul_f32 v[12:13], v[12:13], v[90:91] op_sel_hi:[0,1]
	v_pk_fma_f32 v[86:87], v[66:67], v[36:37], v[20:21] op_sel:[0,0,1] op_sel_hi:[1,1,0] neg_lo:[0,0,1] neg_hi:[0,0,1]
	v_pk_fma_f32 v[20:21], v[66:67], v[36:37], v[20:21] op_sel:[0,0,1] op_sel_hi:[0,1,0]
	v_pk_fma_f32 v[66:67], v[64:65], v[38:39], v[22:23] op_sel:[0,0,1] op_sel_hi:[1,1,0] neg_lo:[0,0,1] neg_hi:[0,0,1]
	v_pk_fma_f32 v[22:23], v[64:65], v[38:39], v[22:23] op_sel:[0,0,1] op_sel_hi:[0,1,0]
	;; [unrolled: 2-line block ×6, first 2 shown]
	v_mov_b32_e32 v87, v21
	v_mov_b32_e32 v67, v23
	;; [unrolled: 1-line block ×6, first 2 shown]
	v_pk_add_f32 v[0:1], v[86:87], v[76:77]
	v_pk_add_f32 v[4:5], v[66:67], v[14:15]
	v_pk_add_f32 v[6:7], v[66:67], v[14:15] neg_lo:[0,1] neg_hi:[0,1]
	v_pk_add_f32 v[12:13], v[64:65], v[8:9]
	v_pk_add_f32 v[14:15], v[4:5], v[0:1]
	v_pk_add_f32 v[2:3], v[86:87], v[76:77] neg_lo:[0,1] neg_hi:[0,1]
	v_pk_add_f32 v[8:9], v[8:9], v[64:65] neg_lo:[0,1] neg_hi:[0,1]
	;; [unrolled: 1-line block ×3, first 2 shown]
	v_mov_b32_e32 v65, v13
	v_mov_b32_e32 v64, v14
	;; [unrolled: 1-line block ×3, first 2 shown]
	v_pk_add_f32 v[4:5], v[12:13], v[4:5] neg_lo:[0,1] neg_hi:[0,1]
	v_pk_add_f32 v[0:1], v[0:1], v[12:13] neg_lo:[0,1] neg_hi:[0,1]
	v_pk_add_f32 v[22:23], v[8:9], v[6:7] op_sel:[1,1] op_sel_hi:[0,0]
	v_pk_add_f32 v[76:77], v[6:7], v[2:3] op_sel:[1,1] op_sel_hi:[0,0] neg_lo:[0,1] neg_hi:[0,1]
	v_pk_add_f32 v[14:15], v[64:65], v[14:15]
	v_pk_mul_f32 v[4:5], v[4:5], s[24:25] op_sel_hi:[1,0]
	v_pk_add_f32 v[6:7], v[8:9], v[6:7] op_sel:[1,1] op_sel_hi:[0,0] neg_lo:[0,1] neg_hi:[0,1]
	v_pk_add_f32 v[66:67], v[2:3], v[8:9] op_sel:[1,1] op_sel_hi:[0,0] neg_lo:[0,1] neg_hi:[0,1]
	v_pk_add_f32 v[22:23], v[22:23], v[2:3] op_sel:[0,1] op_sel_hi:[1,0]
	v_pk_mul_f32 v[2:3], v[0:1], s[18:19] op_sel_hi:[1,0]
	v_pk_add_f32 v[64:65], v[68:69], v[14:15]
	v_pk_fma_f32 v[12:13], v[0:1], s[18:19], v[4:5] op_sel_hi:[1,0,1]
	v_pk_fma_f32 v[4:5], v[20:21], s[14:15], v[4:5] op_sel_hi:[1,0,1] neg_lo:[0,0,1] neg_hi:[0,0,1]
	v_pk_mul_f32 v[6:7], v[6:7], s[26:27] op_sel_hi:[1,0]
	v_pk_mul_f32 v[68:69], v[22:23], s[2:3] op_sel_hi:[1,0]
	v_pk_fma_f32 v[14:15], v[14:15], s[16:17], v[64:65] op_sel_hi:[1,0,1] neg_lo:[1,0,0] neg_hi:[1,0,0]
	v_mov_b32_e32 v0, v13
	v_mov_b32_e32 v1, v4
	v_pk_fma_f32 v[2:3], v[20:21], s[14:15], v[2:3] op_sel_hi:[1,0,1] neg_lo:[1,0,1] neg_hi:[1,0,1]
	v_pk_fma_f32 v[8:9], v[76:77], s[20:21], v[6:7] op_sel_hi:[1,0,1] neg_lo:[0,0,1] neg_hi:[0,0,1]
	v_pk_fma_f32 v[6:7], v[66:67], s[22:23], v[6:7] op_sel_hi:[1,0,1]
	v_pk_mul_f32 v[86:87], v[76:77], s[20:21] op_sel_hi:[1,0]
	v_mov_b32_e32 v20, v7
	v_mov_b32_e32 v21, v8
	v_pk_add_f32 v[76:77], v[2:3], v[14:15]
	v_pk_add_f32 v[0:1], v[0:1], v[14:15] op_sel:[0,1] op_sel_hi:[1,0]
	v_mov_b32_e32 v2, v68
	v_mov_b32_e32 v3, v15
	v_mov_b32_e32 v7, v5
	v_mov_b32_e32 v13, v9
	v_mov_b32_e32 v15, v69
	v_pk_fma_f32 v[66:67], v[66:67], s[22:23], v[86:87] op_sel_hi:[1,0,1] neg_lo:[1,0,1] neg_hi:[1,0,1]
	v_pk_add_f32 v[86:87], v[2:3], v[6:7]
	v_pk_add_f32 v[2:3], v[12:13], v[14:15]
	v_pk_add_f32 v[4:5], v[68:69], v[20:21] op_sel:[1,0] op_sel_hi:[0,1]
	v_mov_b32_e32 v8, v5
	v_mov_b32_e32 v9, v87
	;; [unrolled: 1-line block ×4, first 2 shown]
	v_pk_add_f32 v[12:13], v[8:9], v[12:13]
	v_pk_add_f32 v[8:9], v[86:87], v[2:3] neg_lo:[0,1] neg_hi:[0,1]
	v_pk_fma_f32 v[6:7], v[22:23], s[2:3], v[66:67] op_sel_hi:[1,0,1]
	v_mov_b32_e32 v13, v9
	v_accvgpr_write_b32 a117, v13
	v_pk_add_f32 v[8:9], v[76:77], v[6:7] neg_lo:[0,1] neg_hi:[0,1]
	v_pk_add_f32 v[6:7], v[76:77], v[6:7]
	v_accvgpr_write_b32 a116, v12
	v_mov_b32_e32 v13, v7
	v_mov_b32_e32 v12, v8
	v_accvgpr_write_b32 a63, v13
	v_accvgpr_write_b32 a62, v12
	v_pk_add_f32 v[12:13], v[2:3], v[86:87] neg_lo:[0,1] neg_hi:[0,1]
	v_pk_add_f32 v[66:67], v[2:3], v[86:87]
	v_pk_add_f32 v[14:15], v[0:1], v[4:5]
	v_mov_b32_e32 v13, v67
	v_accvgpr_write_b32 a61, v13
	v_accvgpr_write_b32 a60, v12
	v_pk_add_f32 v[12:13], v[0:1], v[4:5] neg_lo:[0,1] neg_hi:[0,1]
	v_mul_f32_e32 v83, v57, v116
	v_mov_b32_e32 v15, v13
	v_accvgpr_write_b32 a65, v15
	v_mul_f32_e32 v85, v56, v117
	v_mul_f32_e32 v10, v53, v109
	v_accvgpr_write_b32 a64, v14
	v_pk_mul_f32 v[14:15], v[60:61], v[106:107] op_sel_hi:[1,0]
	v_mov_b32_e32 v22, v53
	v_mov_b32_e32 v23, v56
	v_mov_b32_e32 v53, v57
	v_mov_b32_e32 v56, v109
	v_mov_b32_e32 v57, v117
	v_fma_f32 v78, v52, v108, -v10
	v_pk_fma_f32 v[20:21], v[60:61], v[106:107], v[14:15] op_sel:[0,1,1] op_sel_hi:[1,1,0]
	v_pk_fma_f32 v[14:15], v[60:61], v[106:107], v[14:15] op_sel:[0,1,1] op_sel_hi:[1,1,0] neg_lo:[1,0,0] neg_hi:[1,0,0]
	v_mov_b32_e32 v60, v108
	v_mov_b32_e32 v61, v116
	v_pk_mul_f32 v[52:53], v[52:53], v[56:57]
	v_mul_f32_e32 v79, v41, v114
	v_mul_f32_e32 v81, v40, v115
	;; [unrolled: 1-line block ×3, first 2 shown]
	v_pk_fma_f32 v[56:57], v[22:23], v[108:109], v[52:53]
	v_pk_fma_f32 v[22:23], v[22:23], v[60:61], v[52:53] neg_lo:[0,0,1] neg_hi:[0,0,1]
	v_mov_b32_e32 v52, v49
	v_mov_b32_e32 v53, v40
	;; [unrolled: 1-line block ×7, first 2 shown]
	v_pk_mul_f32 v[40:41], v[48:49], v[40:41]
	v_fma_f32 v80, v48, v102, -v24
	v_pk_fma_f32 v[48:49], v[52:53], v[102:103], v[40:41]
	v_pk_fma_f32 v[40:41], v[52:53], v[60:61], v[40:41] neg_lo:[0,0,1] neg_hi:[0,0,1]
	v_pk_mul_f32 v[52:53], v[44:45], v[104:105] op_sel_hi:[1,0]
	v_mov_b32_e32 v8, v105
	v_pk_fma_f32 v[60:61], v[44:45], v[8:9], v[52:53] op_sel:[0,0,1] op_sel_hi:[1,0,0]
	v_pk_fma_f32 v[44:45], v[44:45], v[8:9], v[52:53] op_sel:[0,0,1] op_sel_hi:[1,0,0] neg_lo:[1,0,0] neg_hi:[1,0,0]
	v_mov_b32_e32 v21, v15
	v_mov_b32_e32 v57, v23
	;; [unrolled: 1-line block ×6, first 2 shown]
	v_pk_add_f32 v[12:13], v[78:79], v[80:81]
	v_pk_add_f32 v[52:53], v[20:21], v[60:61]
	v_pk_add_f32 v[20:21], v[20:21], v[60:61] neg_lo:[0,1] neg_hi:[0,1]
	v_pk_add_f32 v[60:61], v[56:57], v[48:49]
	v_pk_add_f32 v[14:15], v[82:83], v[84:85]
	v_pk_add_f32 v[48:49], v[56:57], v[48:49] neg_lo:[0,1] neg_hi:[0,1]
	v_mov_b32_e32 v44, v15
	v_mov_b32_e32 v45, v78
	;; [unrolled: 1-line block ×8, first 2 shown]
	v_pk_add_f32 v[44:45], v[44:45], v[56:57] neg_lo:[0,1] neg_hi:[0,1]
	v_pk_add_f32 v[80:81], v[12:13], v[14:15]
	v_pk_add_f32 v[22:23], v[40:41], v[22:23]
	v_mov_b32_e32 v76, v44
	v_mov_b32_e32 v77, v21
	;; [unrolled: 1-line block ×7, first 2 shown]
	v_pk_add_f32 v[76:77], v[76:77], v[48:49] neg_lo:[0,1] neg_hi:[0,1]
	s_mov_b32 s27, s22
	v_pk_add_f32 v[40:41], v[40:41], v[12:13] neg_lo:[0,1] neg_hi:[0,1]
	v_mov_b32_e32 v15, v81
	v_mov_b32_e32 v82, v22
	;; [unrolled: 1-line block ×3, first 2 shown]
	v_pk_add_f32 v[22:23], v[80:81], v[22:23]
	s_mov_b32 s25, s18
	v_pk_add_f32 v[56:57], v[56:57], v[44:45] neg_lo:[0,1] neg_hi:[0,1]
	s_mov_b32 s23, s26
	v_pk_mul_f32 v[76:77], v[76:77], s[26:27]
	v_pk_add_f32 v[78:79], v[48:49], v[44:45]
	v_pk_add_f32 v[82:83], v[14:15], v[82:83] neg_lo:[0,1] neg_hi:[0,1]
	v_pk_add_f32 v[28:29], v[28:29], v[22:23]
	v_pk_mul_f32 v[40:41], v[40:41], s[24:25]
	s_mov_b32 s19, s24
	v_pk_mul_f32 v[68:69], v[56:57], s[22:23]
	v_pk_add_f32 v[78:79], v[78:79], v[20:21]
	v_pk_mul_f32 v[80:81], v[82:83], s[18:19]
	v_pk_fma_f32 v[22:23], v[22:23], s[16:17], v[28:29] op_sel_hi:[1,0,1] neg_lo:[1,0,0] neg_hi:[1,0,0]
	v_pk_fma_f32 v[82:83], v[82:83], s[18:19], v[40:41]
	v_pk_fma_f32 v[56:57], v[56:57], s[22:23], v[76:77]
	v_pk_add_f32 v[82:83], v[82:83], v[22:23]
	v_pk_fma_f32 v[56:57], v[78:79], s[2:3], v[56:57] op_sel_hi:[1,0,1]
	v_mul_u32_u24_e32 v1, 0x77, v16
	v_pk_add_f32 v[84:85], v[82:83], v[56:57]
	v_pk_add_f32 v[56:57], v[82:83], v[56:57] neg_lo:[0,1] neg_hi:[0,1]
	v_add_lshl_u32 v1, v1, v17, 3
	v_mov_b32_e32 v82, v84
	v_mov_b32_e32 v83, v57
	;; [unrolled: 1-line block ×5, first 2 shown]
	ds_write2_b64 v1, v[28:29], v[82:83] offset1:17
	v_pk_add_f32 v[20:21], v[48:49], v[20:21] neg_lo:[0,1] neg_hi:[0,1]
	v_pk_add_f32 v[12:13], v[12:13], v[14:15] neg_lo:[0,1] neg_hi:[0,1]
	v_mov_b32_e32 v14, v80
	v_mov_b32_e32 v15, v41
	;; [unrolled: 1-line block ×6, first 2 shown]
	v_pk_fma_f32 v[14:15], v[12:13], s[14:15], v[14:15] op_sel_hi:[1,0,1] neg_lo:[1,0,1] neg_hi:[1,0,1]
	v_pk_fma_f32 v[28:29], v[20:21], s[20:21], v[28:29] op_sel_hi:[1,0,1] neg_lo:[1,0,1] neg_hi:[1,0,1]
	;; [unrolled: 1-line block ×4, first 2 shown]
	v_pk_add_f32 v[14:15], v[14:15], v[22:23]
	v_pk_fma_f32 v[28:29], v[78:79], s[2:3], v[28:29] op_sel_hi:[1,0,1]
	v_pk_add_f32 v[12:13], v[12:13], v[22:23]
	v_pk_fma_f32 v[20:21], v[78:79], s[2:3], v[20:21] op_sel_hi:[1,0,1]
	v_pk_add_f32 v[44:45], v[14:15], v[28:29]
	v_pk_add_f32 v[14:15], v[14:15], v[28:29] neg_lo:[0,1] neg_hi:[0,1]
	v_pk_add_f32 v[22:23], v[12:13], v[20:21] neg_lo:[0,1] neg_hi:[0,1]
	v_pk_add_f32 v[12:13], v[12:13], v[20:21]
	s_waitcnt vmcnt(1)
	v_mul_f32_e32 v25, v55, v101
	v_mov_b32_e32 v28, v44
	v_mov_b32_e32 v29, v15
	;; [unrolled: 1-line block ×8, first 2 shown]
	ds_write2_b64 v1, v[28:29], v[20:21] offset0:34 offset1:51
	v_mov_b32_e32 v13, v23
	v_mov_b32_e32 v23, v58
	;; [unrolled: 1-line block ×4, first 2 shown]
	v_pk_mul_f32 v[40:41], v[54:55], v[40:41]
	v_mul_f32_e32 v71, v43, v110
	v_mul_f32_e32 v11, v42, v111
	s_waitcnt vmcnt(0)
	v_mul_f32_e32 v26, v51, v93
	v_mov_b32_e32 v15, v45
	v_pk_fma_f32 v[44:45], v[22:23], v[100:101], v[40:41]
	v_pk_fma_f32 v[22:23], v[22:23], v[28:29], v[40:41] neg_lo:[0,0,1] neg_hi:[0,0,1]
	v_mov_b32_e32 v28, v51
	v_mov_b32_e32 v29, v42
	;; [unrolled: 1-line block ×7, first 2 shown]
	v_pk_mul_f32 v[42:43], v[50:51], v[42:43]
	ds_write2_b64 v1, v[12:13], v[14:15] offset0:68 offset1:85
	v_pk_mul_f32 v[14:15], v[62:63], v[98:99] op_sel_hi:[1,0]
	v_pk_fma_f32 v[48:49], v[28:29], v[92:93], v[42:43]
	v_pk_fma_f32 v[28:29], v[28:29], v[40:41], v[42:43] neg_lo:[0,0,1] neg_hi:[0,0,1]
	v_pk_mul_f32 v[40:41], v[46:47], v[94:95] op_sel_hi:[1,0]
	v_mov_b32_e32 v8, v95
	v_pk_fma_f32 v[20:21], v[62:63], v[98:99], v[14:15] op_sel:[0,1,1] op_sel_hi:[1,1,0]
	v_pk_fma_f32 v[14:15], v[62:63], v[98:99], v[14:15] op_sel:[0,1,1] op_sel_hi:[1,1,0] neg_lo:[1,0,0] neg_hi:[1,0,0]
	v_pk_fma_f32 v[42:43], v[46:47], v[8:9], v[40:41] op_sel:[0,0,1] op_sel_hi:[1,0,0]
	v_pk_fma_f32 v[40:41], v[46:47], v[8:9], v[40:41] op_sel:[0,0,1] op_sel_hi:[1,0,0] neg_lo:[1,0,0] neg_hi:[1,0,0]
	v_mul_f32_e32 v73, v59, v112
	v_mul_f32_e32 v75, v58, v113
	v_fma_f32 v70, v54, v100, -v25
	v_fma_f32 v10, v50, v92, -v26
	v_mov_b32_e32 v21, v15
	v_mov_b32_e32 v45, v23
	v_mov_b32_e32 v49, v29
	v_mov_b32_e32 v43, v41
	v_mov_b32_e32 v72, v15
	v_mov_b32_e32 v74, v41
	v_pk_add_f32 v[12:13], v[70:71], v[10:11]
	v_pk_add_f32 v[46:47], v[20:21], v[42:43]
	v_pk_add_f32 v[20:21], v[20:21], v[42:43] neg_lo:[0,1] neg_hi:[0,1]
	v_pk_add_f32 v[42:43], v[44:45], v[48:49]
	v_pk_add_f32 v[14:15], v[72:73], v[74:75]
	v_pk_add_f32 v[44:45], v[44:45], v[48:49] neg_lo:[0,1] neg_hi:[0,1]
	v_mov_b32_e32 v40, v15
	v_mov_b32_e32 v41, v70
	;; [unrolled: 1-line block ×8, first 2 shown]
	v_pk_add_f32 v[10:11], v[40:41], v[48:49] neg_lo:[0,1] neg_hi:[0,1]
	v_pk_add_f32 v[54:55], v[12:13], v[14:15]
	v_pk_add_f32 v[22:23], v[28:29], v[22:23]
	v_mov_b32_e32 v57, v85
	v_mov_b32_e32 v50, v10
	;; [unrolled: 1-line block ×6, first 2 shown]
	ds_write_b64 v1, v[56:57] offset:816
	v_mov_b32_e32 v40, v20
	v_mov_b32_e32 v41, v45
	v_pk_add_f32 v[50:51], v[50:51], v[44:45] neg_lo:[0,1] neg_hi:[0,1]
	v_pk_add_f32 v[28:29], v[28:29], v[12:13] neg_lo:[0,1] neg_hi:[0,1]
	v_mov_b32_e32 v15, v55
	v_mov_b32_e32 v56, v22
	;; [unrolled: 1-line block ×3, first 2 shown]
	v_pk_add_f32 v[22:23], v[54:55], v[22:23]
	v_pk_add_f32 v[40:41], v[40:41], v[10:11] neg_lo:[0,1] neg_hi:[0,1]
	v_pk_mul_f32 v[50:51], v[50:51], s[26:27]
	v_pk_add_f32 v[52:53], v[44:45], v[10:11]
	v_pk_add_f32 v[56:57], v[14:15], v[56:57] neg_lo:[0,1] neg_hi:[0,1]
	v_pk_add_f32 v[30:31], v[30:31], v[22:23]
	v_pk_mul_f32 v[28:29], v[28:29], s[24:25]
	v_pk_mul_f32 v[48:49], v[40:41], s[22:23]
	v_pk_add_f32 v[52:53], v[52:53], v[20:21]
	v_pk_mul_f32 v[54:55], v[56:57], s[18:19]
	v_pk_fma_f32 v[22:23], v[22:23], s[16:17], v[30:31] op_sel_hi:[1,0,1] neg_lo:[1,0,0] neg_hi:[1,0,0]
	v_pk_fma_f32 v[56:57], v[56:57], s[18:19], v[28:29]
	v_pk_fma_f32 v[40:41], v[40:41], s[22:23], v[50:51]
	v_mov_b32_e32 v45, v11
	v_mov_b32_e32 v13, v42
	;; [unrolled: 1-line block ×3, first 2 shown]
	v_pk_add_f32 v[56:57], v[56:57], v[22:23]
	v_pk_fma_f32 v[40:41], v[52:53], s[2:3], v[40:41] op_sel_hi:[1,0,1]
	v_pk_add_f32 v[10:11], v[44:45], v[20:21] neg_lo:[0,1] neg_hi:[0,1]
	v_pk_add_f32 v[12:13], v[12:13], v[14:15] neg_lo:[0,1] neg_hi:[0,1]
	v_mov_b32_e32 v14, v54
	v_mov_b32_e32 v15, v29
	;; [unrolled: 1-line block ×6, first 2 shown]
	v_accvgpr_write_b32 a43, v1
	v_mul_u32_u24_e32 v1, 0x77, v18
	v_pk_add_f32 v[58:59], v[56:57], v[40:41]
	v_pk_add_f32 v[40:41], v[56:57], v[40:41] neg_lo:[0,1] neg_hi:[0,1]
	v_pk_fma_f32 v[14:15], v[12:13], s[14:15], v[14:15] op_sel_hi:[1,0,1] neg_lo:[1,0,1] neg_hi:[1,0,1]
	v_pk_fma_f32 v[20:21], v[10:11], s[20:21], v[20:21] op_sel_hi:[1,0,1] neg_lo:[1,0,1] neg_hi:[1,0,1]
	;; [unrolled: 1-line block ×4, first 2 shown]
	v_add_lshl_u32 v1, v1, v19, 3
	v_mov_b32_e32 v56, v58
	v_mov_b32_e32 v57, v41
	v_pk_add_f32 v[14:15], v[14:15], v[22:23]
	v_pk_fma_f32 v[20:21], v[52:53], s[2:3], v[20:21] op_sel_hi:[1,0,1]
	v_pk_add_f32 v[12:13], v[12:13], v[22:23]
	v_pk_fma_f32 v[10:11], v[52:53], s[2:3], v[10:11] op_sel_hi:[1,0,1]
	v_accvgpr_write_b32 a47, v39
	v_accvgpr_write_b32 a41, v35
	;; [unrolled: 1-line block ×9, first 2 shown]
	ds_write2_b64 v1, v[30:31], v[56:57] offset1:17
	v_pk_add_f32 v[30:31], v[14:15], v[20:21]
	v_pk_add_f32 v[14:15], v[14:15], v[20:21] neg_lo:[0,1] neg_hi:[0,1]
	v_pk_add_f32 v[22:23], v[12:13], v[10:11] neg_lo:[0,1] neg_hi:[0,1]
	v_pk_add_f32 v[10:11], v[12:13], v[10:11]
	v_accvgpr_write_b32 a46, v38
	v_accvgpr_write_b32 a45, v37
	;; [unrolled: 1-line block ×27, first 2 shown]
	v_mov_b32_e32 v20, v30
	v_mov_b32_e32 v21, v15
	;; [unrolled: 1-line block ×7, first 2 shown]
	v_accvgpr_write_b32 a98, v1
	ds_write2_b64 v1, v[20:21], v[12:13] offset0:34 offset1:51
	ds_write2_b64 v1, v[10:11], v[14:15] offset0:68 offset1:85
	ds_write_b64 v1, v[40:41] offset:816
	s_and_saveexec_b64 s[2:3], vcc
	s_cbranch_execz .LBB0_5
; %bb.4:
	s_movk_i32 s14, 0x77
	v_accvgpr_read_b32 v1, a3
	v_accvgpr_read_b32 v3, a42
	v_mad_legacy_u16 v1, v1, s14, v3
	v_lshlrev_b32_e32 v5, 3, v1
	v_mov_b32_e32 v1, v0
	v_mov_b32_e32 v3, v4
	v_pk_add_f32 v[0:1], v[0:1], v[2:3] neg_lo:[0,1] neg_hi:[0,1]
	v_mov_b32_e32 v7, v9
	v_accvgpr_read_b32 v8, a64
	v_accvgpr_read_b32 v2, a60
	;; [unrolled: 1-line block ×4, first 2 shown]
	v_mov_b32_e32 v67, v1
	v_mov_b32_e32 v0, v9
	;; [unrolled: 1-line block ×3, first 2 shown]
	ds_write2_b64 v5, v[6:7], v[0:1] offset0:34 offset1:51
	v_accvgpr_read_b32 v0, a62
	v_accvgpr_read_b32 v6, a116
	;; [unrolled: 1-line block ×4, first 2 shown]
	ds_write2_b64 v5, v[6:7], v[0:1] offset0:68 offset1:85
	v_mov_b32_e32 v0, v2
	v_mov_b32_e32 v1, v8
	ds_write2_b64 v5, v[64:65], v[66:67] offset1:17
	ds_write_b64 v5, v[0:1] offset:816
.LBB0_5:
	s_or_b64 exec, exec, s[2:3]
	v_lshlrev_b32_e32 v12, 7, v96
	s_waitcnt lgkmcnt(0)
	s_barrier
	global_load_dwordx4 v[16:19], v12, s[10:11] offset:816
	global_load_dwordx4 v[32:35], v12, s[10:11] offset:832
	global_load_dwordx4 v[28:31], v12, s[10:11] offset:848
	global_load_dwordx4 v[24:27], v12, s[10:11] offset:864
	global_load_dwordx4 v[44:47], v12, s[10:11] offset:880
	global_load_dwordx4 v[40:43], v12, s[10:11] offset:896
	v_add_u32_e32 v4, 0x1c00, v218
	v_add_u32_e32 v8, 0x400, v218
	;; [unrolled: 1-line block ×3, first 2 shown]
	ds_read2_b64 v[68:71], v218 offset1:119
	ds_read_b64 v[76:77], v218 offset:15232
	ds_read2_b64 v[0:3], v4 offset0:56 offset1:175
	v_accvgpr_write_b32 a119, v4
	ds_read2_b64 v[4:7], v8 offset0:110 offset1:229
	v_mov_b32_e32 v59, v8
	ds_read2_b64 v[8:11], v13 offset0:92 offset1:211
	global_load_dwordx4 v[36:39], v12, s[10:11] offset:928
	global_load_dwordx4 v[52:55], v12, s[10:11] offset:912
	v_add_u32_e32 v219, 0x1400, v218
	v_add_u32_e32 v48, 0x2400, v218
	v_mov_b32_e32 v58, v13
	ds_read2_b64 v[12:15], v219 offset0:74 offset1:193
	ds_read2_b64 v[20:23], v48 offset0:38 offset1:157
	v_add_u32_e32 v57, 0x2c00, v218
	v_accvgpr_write_b32 a120, v48
	ds_read2_b64 v[48:51], v57 offset0:20 offset1:139
	v_add_u32_e32 v56, 0x3000, v218
	ds_read2_b64 v[72:75], v56 offset0:130 offset1:249
	s_waitcnt lgkmcnt(8)
	v_mov_b32_e32 v78, v71
	s_waitcnt lgkmcnt(5)
	v_mov_b32_e32 v80, v5
	v_mov_b32_e32 v82, v7
	s_waitcnt lgkmcnt(4)
	v_mov_b32_e32 v86, v11
	s_waitcnt lgkmcnt(3)
	v_mov_b32_e32 v90, v15
	v_mov_b32_e32 v84, v9
	;; [unrolled: 1-line block ×3, first 2 shown]
	s_mov_b32 s42, 0xbeb8f4ab
	s_mov_b32 s43, 0x3f6eb680
	;; [unrolled: 1-line block ×48, first 2 shown]
	s_waitcnt vmcnt(7)
	v_pk_mul_f32 v[92:93], v[70:71], v[16:17]
	v_pk_mul_f32 v[94:95], v[4:5], v[18:19]
	s_waitcnt vmcnt(5)
	v_pk_mul_f32 v[112:113], v[12:13], v[30:31]
	s_waitcnt vmcnt(4)
	v_pk_mul_f32 v[114:115], v[14:15], v[24:25]
	v_mov_b32_e32 v92, v17
	v_mov_b32_e32 v98, v19
	v_pk_mul_f32 v[100:101], v[6:7], v[32:33]
	v_mov_b32_e32 v102, v33
	v_pk_mul_f32 v[104:105], v[8:9], v[34:35]
	v_pk_mul_f32 v[108:109], v[10:11], v[28:29]
	v_mov_b32_e32 v110, v29
	v_mov_b32_e32 v112, v31
	;; [unrolled: 1-line block ×5, first 2 shown]
	v_pk_mul_f32 v[92:93], v[70:71], v[92:93]
	v_pk_mul_f32 v[4:5], v[4:5], v[98:99]
	v_mov_b32_e32 v98, v94
	v_mov_b32_e32 v99, v100
	;; [unrolled: 1-line block ×3, first 2 shown]
	v_pk_mul_f32 v[6:7], v[6:7], v[102:103]
	v_mov_b32_e32 v94, v104
	v_mov_b32_e32 v95, v108
	;; [unrolled: 1-line block ×3, first 2 shown]
	v_pk_mul_f32 v[10:11], v[10:11], v[110:111]
	v_mov_b32_e32 v102, v113
	v_pk_mul_f32 v[104:105], v[12:13], v[112:113]
	v_pk_mul_f32 v[110:111], v[14:15], v[114:115]
	v_pk_mul_f32 v[112:113], v[0:1], v[116:117] op_sel_hi:[1,0]
	v_pk_fma_f32 v[116:117], v[70:71], v[16:17], v[120:121] neg_lo:[0,0,1] neg_hi:[0,0,1]
	s_waitcnt vmcnt(2) lgkmcnt(2)
	v_pk_mul_f32 v[70:71], v[22:23], v[40:41] op_sel:[0,1]
	v_pk_fma_f32 v[10:11], v[86:87], v[28:29], v[10:11]
	v_pk_fma_f32 v[86:87], v[90:91], v[24:25], v[110:111]
	v_pk_fma_f32 v[90:91], v[22:23], v[40:41], v[70:71] op_sel:[0,0,1] op_sel_hi:[1,0,0] neg_lo:[0,0,1] neg_hi:[0,0,1]
	v_pk_fma_f32 v[22:23], v[22:23], v[40:41], v[70:71] op_sel:[0,0,1] op_sel_hi:[1,0,0]
	v_mov_b32_e32 v70, v43
	s_waitcnt lgkmcnt(1)
	v_pk_mul_f32 v[70:71], v[48:49], v[70:71] op_sel_hi:[1,0]
	v_pk_fma_f32 v[4:5], v[80:81], v[18:19], v[4:5]
	v_pk_fma_f32 v[80:81], v[48:49], v[42:43], v[70:71] op_sel:[0,0,1] op_sel_hi:[1,0,0] neg_lo:[0,0,1] neg_hi:[0,0,1]
	v_pk_fma_f32 v[48:49], v[48:49], v[42:43], v[70:71] op_sel:[0,0,1] op_sel_hi:[1,0,0]
	s_waitcnt vmcnt(0)
	v_pk_mul_f32 v[70:71], v[50:51], v[52:53] op_sel:[0,1]
	v_mov_b32_e32 v106, v35
	v_pk_fma_f32 v[92:93], v[78:79], v[16:17], v[92:93]
	v_pk_fma_f32 v[78:79], v[50:51], v[52:53], v[70:71] op_sel:[0,0,1] op_sel_hi:[1,0,0] neg_lo:[0,0,1] neg_hi:[0,0,1]
	v_pk_fma_f32 v[50:51], v[50:51], v[52:53], v[70:71] op_sel:[0,0,1] op_sel_hi:[1,0,0]
	v_mov_b32_e32 v70, v55
	v_pk_mul_f32 v[8:9], v[8:9], v[106:107]
	v_mov_b32_e32 v106, v115
	s_waitcnt lgkmcnt(0)
	v_pk_mul_f32 v[70:71], v[72:73], v[70:71] op_sel_hi:[1,0]
	v_pk_fma_f32 v[6:7], v[82:83], v[32:33], v[6:7]
	v_pk_fma_f32 v[82:83], v[88:89], v[30:31], v[104:105]
	v_pk_fma_f32 v[14:15], v[14:15], v[24:25], v[106:107] neg_lo:[0,0,1] neg_hi:[0,0,1]
	v_pk_fma_f32 v[104:105], v[72:73], v[54:55], v[70:71] op_sel:[0,0,1] op_sel_hi:[1,0,0] neg_lo:[0,0,1] neg_hi:[0,0,1]
	v_pk_fma_f32 v[106:107], v[72:73], v[54:55], v[70:71] op_sel:[0,0,1] op_sel_hi:[1,0,0]
	v_pk_mul_f32 v[70:71], v[74:75], v[36:37] op_sel:[0,1]
	v_pk_mul_f32 v[118:119], v[2:3], v[44:45] op_sel:[0,1]
	v_pk_fma_f32 v[110:111], v[74:75], v[36:37], v[70:71] op_sel:[0,0,1] op_sel_hi:[1,0,0] neg_lo:[0,0,1] neg_hi:[0,0,1]
	v_pk_fma_f32 v[74:75], v[74:75], v[36:37], v[70:71] op_sel:[0,0,1] op_sel_hi:[1,0,0]
	v_mov_b32_e32 v70, v39
	v_pk_mul_f32 v[70:71], v[76:77], v[70:71] op_sel_hi:[1,0]
	v_pk_add_f32 v[98:99], v[98:99], v[100:101] neg_lo:[0,1] neg_hi:[0,1]
	v_pk_fma_f32 v[72:73], v[76:77], v[38:39], v[70:71] op_sel:[0,0,1] op_sel_hi:[1,0,0] neg_lo:[0,0,1] neg_hi:[0,0,1]
	v_pk_fma_f32 v[76:77], v[76:77], v[38:39], v[70:71] op_sel:[0,0,1] op_sel_hi:[1,0,0]
	v_mov_b32_e32 v71, v92
	v_pk_add_f32 v[70:71], v[70:71], v[76:77]
	v_pk_fma_f32 v[114:115], v[2:3], v[44:45], v[118:119] op_sel:[0,0,1] op_sel_hi:[1,1,0] neg_lo:[0,0,1] neg_hi:[0,0,1]
	v_mov_b32_e32 v70, v77
	v_pk_add_f32 v[224:225], v[92:93], v[70:71] neg_lo:[0,1] neg_hi:[0,1]
	v_mov_b32_e32 v70, v75
	v_pk_fma_f32 v[2:3], v[2:3], v[44:45], v[118:119] op_sel:[0,0,1] op_sel_hi:[1,0,0]
	v_pk_fma_f32 v[8:9], v[84:85], v[34:35], v[8:9]
	v_mov_b32_e32 v119, v77
	v_pk_add_f32 v[226:227], v[4:5], v[70:71] neg_lo:[0,1] neg_hi:[0,1]
	v_mov_b32_e32 v70, v99
	v_mov_b32_e32 v77, v104
	v_pk_add_f32 v[84:85], v[94:95], v[108:109] neg_lo:[0,1] neg_hi:[0,1]
	v_mov_b32_e32 v108, v104
	v_pk_add_f32 v[192:193], v[70:71], v[104:105]
	v_pk_add_f32 v[104:105], v[98:99], v[76:77] neg_lo:[0,1] neg_hi:[0,1]
	v_mov_b32_e32 v77, v8
	v_pk_add_f32 v[76:77], v[76:77], v[50:51]
	v_mov_b32_e32 v50, v51
	v_pk_add_f32 v[220:221], v[116:117], v[72:73]
	v_pk_add_f32 v[124:125], v[116:117], v[72:73] neg_lo:[0,1] neg_hi:[0,1]
	v_mov_b32_e32 v73, v4
	v_pk_add_f32 v[202:203], v[8:9], v[50:51] neg_lo:[0,1] neg_hi:[0,1]
	v_mov_b32_e32 v50, v85
	v_pk_fma_f32 v[12:13], v[12:13], v[30:31], v[102:103] neg_lo:[0,0,1] neg_hi:[0,0,1]
	v_pk_fma_f32 v[88:89], v[0:1], v[26:27], v[112:113] op_sel:[0,0,1] op_sel_hi:[1,1,0] neg_lo:[0,0,1] neg_hi:[0,0,1]
	v_pk_fma_f32 v[0:1], v[0:1], v[26:27], v[112:113] op_sel:[0,0,1] op_sel_hi:[1,0,0]
	v_mov_b32_e32 v103, v51
	v_mov_b32_e32 v113, v75
	;; [unrolled: 1-line block ×3, first 2 shown]
	v_pk_add_f32 v[72:73], v[72:73], v[74:75]
	v_mov_b32_e32 v75, v6
	v_pk_add_f32 v[198:199], v[50:51], v[80:81]
	v_mov_b32_e32 v51, v10
	v_mov_b32_e32 v102, v78
	;; [unrolled: 1-line block ×3, first 2 shown]
	v_pk_add_f32 v[74:75], v[74:75], v[106:107]
	v_mov_b32_e32 v72, v107
	v_pk_add_f32 v[196:197], v[84:85], v[78:79]
	v_pk_add_f32 v[106:107], v[84:85], v[78:79] neg_lo:[0,1] neg_hi:[0,1]
	v_pk_add_f32 v[78:79], v[50:51], v[48:49]
	v_mov_b32_e32 v48, v49
	v_mov_b32_e32 v0, v47
	;; [unrolled: 1-line block ×3, first 2 shown]
	v_pk_add_f32 v[210:211], v[10:11], v[48:49] neg_lo:[0,1] neg_hi:[0,1]
	v_mov_b32_e32 v49, v82
	v_mov_b32_e32 v89, v1
	v_pk_mul_f32 v[0:1], v[20:21], v[0:1] op_sel_hi:[1,0]
	v_mov_b32_e32 v100, v80
	v_mov_b32_e32 v51, v80
	v_pk_add_f32 v[80:81], v[48:49], v[22:23]
	v_mov_b32_e32 v22, v23
	v_mov_b32_e32 v115, v3
	v_pk_fma_f32 v[2:3], v[20:21], v[46:47], v[0:1] op_sel:[0,0,1] op_sel_hi:[1,0,0] neg_lo:[0,0,1] neg_hi:[0,0,1]
	v_pk_add_f32 v[212:213], v[82:83], v[22:23] neg_lo:[0,1] neg_hi:[0,1]
	v_mov_b32_e32 v22, v69
	v_pk_fma_f32 v[0:1], v[20:21], v[46:47], v[0:1] op_sel:[0,0,1] op_sel_hi:[1,0,0]
	v_mov_b32_e32 v20, v2
	v_mov_b32_e32 v95, v23
	;; [unrolled: 1-line block ×3, first 2 shown]
	v_pk_add_f32 v[206:207], v[14:15], v[2:3]
	v_pk_add_f32 v[2:3], v[14:15], v[2:3] neg_lo:[0,1] neg_hi:[0,1]
	v_pk_add_f32 v[14:15], v[68:69], v[116:117]
	v_pk_add_f32 v[22:23], v[22:23], v[92:93]
	;; [unrolled: 1-line block ×6, first 2 shown]
	v_pk_add_f32 v[200:201], v[6:7], v[72:73] neg_lo:[0,1] neg_hi:[0,1]
	v_pk_add_f32 v[6:7], v[14:15], v[84:85]
	v_pk_add_f32 v[4:5], v[4:5], v[8:9]
	;; [unrolled: 1-line block ×4, first 2 shown]
	v_mov_b32_e32 v112, v110
	v_mov_b32_e32 v120, v12
	;; [unrolled: 1-line block ×3, first 2 shown]
	v_pk_add_f32 v[222:223], v[98:99], v[110:111]
	v_pk_add_f32 v[110:111], v[98:99], v[110:111] neg_lo:[0,1] neg_hi:[0,1]
	v_pk_add_f32 v[204:205], v[12:13], v[90:91]
	v_pk_add_f32 v[12:13], v[12:13], v[90:91] neg_lo:[0,1] neg_hi:[0,1]
	v_mov_b32_e32 v7, v4
	v_mov_b32_e32 v221, v124
	;; [unrolled: 1-line block ×4, first 2 shown]
	v_pk_add_f32 v[4:5], v[6:7], v[120:121]
	v_mov_b32_e32 v70, v224
	v_pk_mul_f32 v[8:9], v[220:221], s[10:11]
	v_mov_b32_e32 v223, v110
	v_pk_add_f32 v[126:127], v[84:85], v[50:51] neg_lo:[0,1] neg_hi:[0,1]
	v_pk_add_f32 v[82:83], v[12:13], v[0:1]
	v_mov_b32_e32 v0, v1
	v_pk_add_f32 v[4:5], v[4:5], v[122:123]
	v_pk_fma_f32 v[6:7], v[224:225], s[42:43], v[8:9] neg_lo:[1,0,0] neg_hi:[1,0,0]
	v_pk_fma_f32 v[84:85], v[70:71], s[42:43], v[8:9]
	v_accvgpr_write_b32 a125, v9
	v_mov_b32_e32 v72, v226
	v_pk_mul_f32 v[10:11], v[222:223], s[18:19]
	v_mov_b32_e32 v21, v1
	v_pk_add_f32 v[214:215], v[86:87], v[0:1] neg_lo:[0,1] neg_hi:[0,1]
	v_pk_add_f32 v[208:209], v[88:89], v[114:115]
	v_pk_add_f32 v[0:1], v[88:89], v[114:115] neg_lo:[0,1] neg_hi:[0,1]
	v_pk_add_f32 v[4:5], v[4:5], v[88:89]
	v_accvgpr_write_b32 a124, v8
	v_mov_b32_e32 v7, v85
	v_pk_fma_f32 v[8:9], v[226:227], s[50:51], v[10:11] neg_lo:[1,0,0] neg_hi:[1,0,0]
	v_pk_fma_f32 v[88:89], v[72:73], s[50:51], v[10:11]
	v_accvgpr_write_b32 a127, v11
	v_mov_b32_e32 v193, v105
	v_pk_add_f32 v[6:7], v[68:69], v[6:7]
	v_accvgpr_write_b32 a126, v10
	v_mov_b32_e32 v9, v89
	v_mov_b32_e32 v74, v200
	v_pk_mul_f32 v[10:11], v[192:193], s[14:15]
	v_pk_add_f32 v[6:7], v[8:9], v[6:7]
	v_pk_fma_f32 v[8:9], v[200:201], s[62:63], v[10:11] neg_lo:[1,0,0] neg_hi:[1,0,0]
	v_pk_fma_f32 v[92:93], v[74:75], s[62:63], v[10:11]
	v_accvgpr_write_b32 a129, v11
	v_mov_b32_e32 v197, v106
	v_accvgpr_write_b32 a128, v10
	v_mov_b32_e32 v9, v93
	v_mov_b32_e32 v76, v202
	v_pk_mul_f32 v[10:11], v[196:197], s[16:17]
	v_pk_add_f32 v[6:7], v[8:9], v[6:7]
	v_pk_fma_f32 v[8:9], v[202:203], s[48:49], v[10:11] neg_lo:[1,0,0] neg_hi:[1,0,0]
	v_pk_fma_f32 v[144:145], v[76:77], s[48:49], v[10:11]
	v_accvgpr_write_b32 a131, v11
	v_mov_b32_e32 v199, v127
	;; [unrolled: 9-line block ×3, first 2 shown]
	v_accvgpr_write_b32 a132, v10
	v_mov_b32_e32 v9, v149
	v_mov_b32_e32 v80, v212
	v_pk_mul_f32 v[10:11], v[204:205], s[22:23]
	v_pk_add_f32 v[6:7], v[8:9], v[6:7]
	v_pk_fma_f32 v[8:9], v[212:213], s[44:45], v[10:11] neg_lo:[1,0,0] neg_hi:[1,0,0]
	v_pk_fma_f32 v[152:153], v[80:81], s[44:45], v[10:11]
	v_pk_add_f32 v[4:5], v[4:5], v[114:115]
	v_mov_b32_e32 v9, v153
	v_mov_b32_e32 v207, v2
	v_mov_b32_e32 v94, v90
	v_pk_add_f32 v[4:5], v[4:5], v[20:21]
	v_pk_add_f32 v[6:7], v[8:9], v[6:7]
	v_mov_b32_e32 v82, v214
	v_pk_mul_f32 v[8:9], v[206:207], s[20:21]
	v_pk_add_f32 v[4:5], v[4:5], v[94:95]
	v_pk_fma_f32 v[2:3], v[214:215], s[46:47], v[8:9] neg_lo:[1,0,0] neg_hi:[1,0,0]
	v_pk_fma_f32 v[156:157], v[82:83], s[46:47], v[8:9]
	v_pk_add_f32 v[4:5], v[4:5], v[100:101]
	v_mov_b32_e32 v3, v157
	v_mov_b32_e32 v161, v209
	;; [unrolled: 1-line block ×3, first 2 shown]
	v_pk_add_f32 v[4:5], v[4:5], v[102:103]
	v_pk_add_f32 v[2:3], v[2:3], v[6:7]
	v_mov_b32_e32 v160, v1
	v_pk_mul_f32 v[6:7], v[208:209], s[26:27]
	v_pk_add_f32 v[4:5], v[4:5], v[108:109]
	v_pk_fma_f32 v[0:1], v[160:161], s[54:55], v[6:7] neg_lo:[1,0,0] neg_hi:[1,0,0]
	v_pk_fma_f32 v[162:163], v[160:161], s[54:55], v[6:7]
	v_pk_add_f32 v[4:5], v[4:5], v[112:113]
	v_mov_b32_e32 v1, v163
	v_pk_add_f32 v[4:5], v[4:5], v[118:119]
	v_pk_add_f32 v[0:1], v[0:1], v[2:3]
	v_pk_mul_f32 v[2:3], v[220:221], s[18:19]
	v_accvgpr_write_b32 a139, v7
	ds_write2_b64 v218, v[4:5], v[0:1] offset1:119
	v_pk_fma_f32 v[0:1], v[224:225], s[50:51], v[2:3] neg_lo:[1,0,0] neg_hi:[1,0,0]
	v_pk_fma_f32 v[166:167], v[70:71], s[50:51], v[2:3]
	v_accvgpr_write_b32 a141, v3
	v_pk_mul_f32 v[4:5], v[222:223], s[16:17]
	v_accvgpr_write_b32 a137, v9
	v_accvgpr_write_b32 a138, v6
	;; [unrolled: 1-line block ×3, first 2 shown]
	v_mov_b32_e32 v1, v167
	v_pk_fma_f32 v[2:3], v[226:227], s[48:49], v[4:5] neg_lo:[1,0,0] neg_hi:[1,0,0]
	v_pk_fma_f32 v[168:169], v[72:73], s[48:49], v[4:5]
	v_accvgpr_write_b32 a143, v5
	v_pk_mul_f32 v[6:7], v[192:193], s[22:23]
	v_accvgpr_write_b32 a136, v8
	v_accvgpr_write_b32 a142, v4
	v_mov_b32_e32 v3, v169
	v_pk_fma_f32 v[4:5], v[200:201], s[44:45], v[6:7] neg_lo:[1,0,0] neg_hi:[1,0,0]
	v_pk_fma_f32 v[170:171], v[74:75], s[44:45], v[6:7]
	v_accvgpr_write_b32 a145, v7
	v_pk_mul_f32 v[8:9], v[196:197], s[26:27]
	v_pk_add_f32 v[0:1], v[68:69], v[0:1]
	v_accvgpr_write_b32 a144, v6
	v_mov_b32_e32 v5, v171
	v_pk_fma_f32 v[6:7], v[202:203], s[54:55], v[8:9] neg_lo:[1,0,0] neg_hi:[1,0,0]
	v_pk_fma_f32 v[172:173], v[76:77], s[54:55], v[8:9]
	v_accvgpr_write_b32 a147, v9
	v_pk_mul_f32 v[182:183], v[198:199], s[30:31]
	v_pk_add_f32 v[0:1], v[2:3], v[0:1]
	v_accvgpr_write_b32 a135, v11
	v_accvgpr_write_b32 a146, v8
	v_mov_b32_e32 v7, v173
	v_pk_fma_f32 v[8:9], v[210:211], s[70:71], v[182:183] neg_lo:[1,0,0] neg_hi:[1,0,0]
	v_pk_fma_f32 v[174:175], v[78:79], s[70:71], v[182:183]
	v_pk_mul_f32 v[180:181], v[204:205], s[28:29]
	v_pk_add_f32 v[0:1], v[4:5], v[0:1]
	v_accvgpr_write_b32 a134, v10
	v_mov_b32_e32 v9, v175
	v_pk_fma_f32 v[10:11], v[212:213], s[68:69], v[180:181] neg_lo:[1,0,0] neg_hi:[1,0,0]
	v_pk_fma_f32 v[184:185], v[80:81], s[68:69], v[180:181]
	v_pk_mul_f32 v[178:179], v[206:207], s[36:37]
	v_pk_add_f32 v[0:1], v[6:7], v[0:1]
	v_mov_b32_e32 v11, v185
	v_pk_fma_f32 v[2:3], v[214:215], s[56:57], v[178:179] neg_lo:[1,0,0] neg_hi:[1,0,0]
	v_pk_fma_f32 v[194:195], v[82:83], s[56:57], v[178:179]
	v_pk_mul_f32 v[176:177], v[208:209], s[34:35]
	v_pk_add_f32 v[0:1], v[8:9], v[0:1]
	v_mov_b32_e32 v3, v195
	v_pk_fma_f32 v[4:5], v[160:161], s[60:61], v[176:177] neg_lo:[1,0,0] neg_hi:[1,0,0]
	v_pk_add_f32 v[0:1], v[10:11], v[0:1]
	v_pk_fma_f32 v[216:217], v[160:161], s[60:61], v[176:177]
	v_pk_mul_f32 v[164:165], v[220:221], s[14:15]
	v_mov_b32_e32 v5, v217
	v_pk_add_f32 v[0:1], v[2:3], v[0:1]
	v_pk_fma_f32 v[2:3], v[224:225], s[62:63], v[164:165] neg_lo:[1,0,0] neg_hi:[1,0,0]
	v_pk_fma_f32 v[228:229], v[70:71], s[62:63], v[164:165]
	v_pk_mul_f32 v[158:159], v[222:223], s[22:23]
	s_mov_b32 s58, 0x3e3c28d5
	v_pk_add_f32 v[0:1], v[4:5], v[0:1]
	v_mov_b32_e32 v3, v229
	v_pk_fma_f32 v[4:5], v[226:227], s[44:45], v[158:159] neg_lo:[1,0,0] neg_hi:[1,0,0]
	v_pk_fma_f32 v[230:231], v[72:73], s[44:45], v[158:159]
	s_mov_b32 s76, s55
	s_mov_b32 s77, s58
	v_mov_b32_e32 v5, v231
	v_pk_add_f32 v[2:3], v[68:69], v[2:3]
	s_mov_b32 s59, s55
	v_pk_mul_f32 v[154:155], v[192:193], s[76:77]
	v_pk_add_f32 v[2:3], v[4:5], v[2:3]
	v_pk_fma_f32 v[4:5], v[200:201], s[58:59], v[154:155] neg_lo:[1,0,0] neg_hi:[1,0,0]
	v_pk_fma_f32 v[236:237], v[74:75], s[58:59], v[154:155]
	v_pk_mul_f32 v[150:151], v[196:197], s[28:29]
	v_mov_b32_e32 v5, v237
	s_mov_b32 s66, 0x3f2c7751
	v_pk_add_f32 v[2:3], v[4:5], v[2:3]
	v_pk_fma_f32 v[4:5], v[202:203], s[68:69], v[150:151] neg_lo:[1,0,0] neg_hi:[1,0,0]
	v_pk_fma_f32 v[238:239], v[76:77], s[68:69], v[150:151]
	s_mov_b32 s38, s51
	s_mov_b32 s39, s66
	v_mov_b32_e32 v5, v239
	s_mov_b32 s67, s51
	v_pk_mul_f32 v[146:147], v[198:199], s[38:39]
	v_pk_add_f32 v[2:3], v[4:5], v[2:3]
	v_pk_fma_f32 v[4:5], v[210:211], s[66:67], v[146:147] neg_lo:[1,0,0] neg_hi:[1,0,0]
	v_pk_fma_f32 v[240:241], v[78:79], s[66:67], v[146:147]
	v_pk_mul_f32 v[138:139], v[204:205], s[10:11]
	v_mov_b32_e32 v5, v241
	v_pk_add_f32 v[2:3], v[4:5], v[2:3]
	v_pk_fma_f32 v[4:5], v[212:213], s[42:43], v[138:139] neg_lo:[1,0,0] neg_hi:[1,0,0]
	v_pk_fma_f32 v[242:243], v[80:81], s[42:43], v[138:139]
	v_pk_mul_f32 v[108:109], v[206:207], s[16:17]
	v_mov_b32_e32 v5, v243
	v_pk_add_f32 v[2:3], v[4:5], v[2:3]
	v_pk_fma_f32 v[4:5], v[214:215], s[48:49], v[108:109] neg_lo:[1,0,0] neg_hi:[1,0,0]
	v_pk_fma_f32 v[248:249], v[82:83], s[48:49], v[108:109]
	v_pk_mul_f32 v[100:101], v[208:209], s[20:21]
	v_mov_b32_e32 v5, v249
	v_pk_add_f32 v[2:3], v[4:5], v[2:3]
	v_pk_fma_f32 v[4:5], v[160:161], s[46:47], v[100:101] neg_lo:[1,0,0] neg_hi:[1,0,0]
	v_pk_fma_f32 v[250:251], v[160:161], s[46:47], v[100:101]
	v_accvgpr_write_b32 a115, v55
	v_mov_b32_e32 v5, v251
	v_accvgpr_write_b32 a114, v54
	v_accvgpr_write_b32 a113, v53
	;; [unrolled: 1-line block ×3, first 2 shown]
	v_pk_add_f32 v[2:3], v[4:5], v[2:3]
	v_pk_mul_f32 v[54:55], v[220:221], s[16:17]
	ds_write2_b64 v59, v[0:1], v[2:3] offset0:110 offset1:229
	v_pk_fma_f32 v[0:1], v[224:225], s[48:49], v[54:55] neg_lo:[1,0,0] neg_hi:[1,0,0]
	v_pk_fma_f32 v[102:103], v[70:71], s[48:49], v[54:55]
	v_pk_mul_f32 v[98:99], v[222:223], s[26:27]
	v_mov_b32_e32 v1, v103
	v_pk_fma_f32 v[4:5], v[226:227], s[54:55], v[98:99] neg_lo:[1,0,0] neg_hi:[1,0,0]
	v_pk_fma_f32 v[104:105], v[72:73], s[54:55], v[98:99]
	v_pk_add_f32 v[0:1], v[68:69], v[0:1]
	v_mov_b32_e32 v5, v105
	v_pk_mul_f32 v[118:119], v[192:193], s[28:29]
	v_pk_add_f32 v[0:1], v[4:5], v[0:1]
	v_pk_fma_f32 v[4:5], v[200:201], s[68:69], v[118:119] neg_lo:[1,0,0] neg_hi:[1,0,0]
	v_pk_fma_f32 v[110:111], v[74:75], s[68:69], v[118:119]
	v_pk_mul_f32 v[120:121], v[196:197], s[34:35]
	v_mov_b32_e32 v5, v111
	v_pk_add_f32 v[0:1], v[4:5], v[0:1]
	v_pk_fma_f32 v[4:5], v[202:203], s[60:61], v[120:121] neg_lo:[1,0,0] neg_hi:[1,0,0]
	v_pk_fma_f32 v[112:113], v[76:77], s[60:61], v[120:121]
	v_pk_mul_f32 v[124:125], v[198:199], s[14:15]
	v_mov_b32_e32 v5, v113
	;; [unrolled: 5-line block ×3, first 2 shown]
	s_mov_b32 s74, 0x3f4c4adb
	v_pk_add_f32 v[0:1], v[4:5], v[0:1]
	v_pk_fma_f32 v[4:5], v[212:213], s[46:47], v[126:127] neg_lo:[1,0,0] neg_hi:[1,0,0]
	v_pk_fma_f32 v[116:117], v[80:81], s[46:47], v[126:127]
	s_mov_b32 s52, s45
	s_mov_b32 s53, s74
	v_mov_b32_e32 v5, v117
	s_mov_b32 s75, s45
	v_pk_mul_f32 v[94:95], v[206:207], s[52:53]
	v_pk_add_f32 v[0:1], v[4:5], v[0:1]
	v_pk_fma_f32 v[4:5], v[214:215], s[74:75], v[94:95] neg_lo:[1,0,0] neg_hi:[1,0,0]
	v_pk_fma_f32 v[122:123], v[82:83], s[74:75], v[94:95]
	v_pk_mul_f32 v[90:91], v[208:209], s[38:39]
	v_mov_b32_e32 v5, v123
	v_pk_add_f32 v[0:1], v[4:5], v[0:1]
	v_pk_fma_f32 v[4:5], v[160:161], s[66:67], v[90:91] neg_lo:[1,0,0] neg_hi:[1,0,0]
	v_pk_fma_f32 v[128:129], v[160:161], s[66:67], v[90:91]
	v_pk_mul_f32 v[86:87], v[220:221], s[24:25]
	v_mov_b32_e32 v5, v129
	v_pk_add_f32 v[12:13], v[4:5], v[0:1]
	v_pk_fma_f32 v[0:1], v[224:225], s[40:41], v[86:87] neg_lo:[1,0,0] neg_hi:[1,0,0]
	v_pk_fma_f32 v[134:135], v[70:71], s[40:41], v[86:87]
	v_pk_mul_f32 v[50:51], v[222:223], s[30:31]
	v_accvgpr_write_b32 a107, v43
	v_mov_b32_e32 v1, v135
	v_pk_fma_f32 v[4:5], v[226:227], s[70:71], v[50:51] neg_lo:[1,0,0] neg_hi:[1,0,0]
	v_pk_fma_f32 v[142:143], v[72:73], s[70:71], v[50:51]
	v_accvgpr_write_b32 a106, v42
	v_accvgpr_write_b32 a105, v41
	;; [unrolled: 1-line block ×3, first 2 shown]
	v_mov_b32_e32 v5, v143
	v_pk_add_f32 v[0:1], v[68:69], v[0:1]
	v_pk_mul_f32 v[42:43], v[192:193], s[38:39]
	v_accvgpr_write_b32 a97, v35
	v_pk_add_f32 v[0:1], v[4:5], v[0:1]
	v_pk_fma_f32 v[4:5], v[200:201], s[66:67], v[42:43] neg_lo:[1,0,0] neg_hi:[1,0,0]
	v_pk_fma_f32 v[140:141], v[74:75], s[66:67], v[42:43]
	v_accvgpr_write_b32 a96, v34
	v_accvgpr_write_b32 a95, v33
	;; [unrolled: 1-line block ×3, first 2 shown]
	v_mov_b32_e32 v5, v141
	v_pk_mul_f32 v[34:35], v[196:197], s[14:15]
	v_pk_add_f32 v[6:7], v[4:5], v[0:1]
	v_pk_fma_f32 v[8:9], v[202:203], s[62:63], v[34:35] neg_lo:[1,0,0] neg_hi:[1,0,0]
	v_pk_fma_f32 v[4:5], v[76:77], s[62:63], v[34:35]
	v_pk_mul_f32 v[246:247], v[198:199], s[26:27]
	v_mov_b32_e32 v9, v5
	s_mov_b32 s72, 0x3f7ee86f
	v_pk_add_f32 v[8:9], v[8:9], v[6:7]
	v_pk_fma_f32 v[14:15], v[210:211], s[54:55], v[246:247] neg_lo:[1,0,0] neg_hi:[1,0,0]
	v_pk_fma_f32 v[6:7], v[78:79], s[54:55], v[246:247]
	s_mov_b32 s64, s49
	s_mov_b32 s65, s72
	v_mov_b32_e32 v15, v7
	s_mov_b32 s73, s49
	v_pk_mul_f32 v[10:11], v[204:205], s[64:65]
	v_pk_add_f32 v[14:15], v[14:15], v[8:9]
	v_pk_fma_f32 v[20:21], v[212:213], s[72:73], v[10:11] neg_lo:[1,0,0] neg_hi:[1,0,0]
	v_pk_fma_f32 v[8:9], v[80:81], s[72:73], v[10:11]
	v_pk_mul_f32 v[106:107], v[206:207], s[10:11]
	v_mov_b32_e32 v21, v9
	v_pk_add_f32 v[14:15], v[20:21], v[14:15]
	v_pk_fma_f32 v[20:21], v[214:215], s[42:43], v[106:107] neg_lo:[1,0,0] neg_hi:[1,0,0]
	v_pk_fma_f32 v[244:245], v[82:83], s[42:43], v[106:107]
	v_pk_mul_f32 v[186:187], v[208:209], s[22:23]
	v_mov_b32_e32 v21, v245
	v_pk_add_f32 v[14:15], v[20:21], v[14:15]
	v_pk_fma_f32 v[20:21], v[160:161], s[44:45], v[186:187] neg_lo:[1,0,0] neg_hi:[1,0,0]
	v_pk_fma_f32 v[48:49], v[160:161], s[44:45], v[186:187]
	v_accvgpr_write_b32 a93, v31
	v_mov_b32_e32 v21, v49
	v_pk_add_f32 v[14:15], v[20:21], v[14:15]
	ds_write2_b64 v58, v[12:13], v[14:15] offset0:92 offset1:211
	v_pk_mul_f32 v[12:13], v[220:221], s[22:23]
	v_pk_mul_f32 v[14:15], v[222:223], s[28:29]
	v_pk_fma_f32 v[20:21], v[224:225], s[44:45], v[12:13] neg_lo:[1,0,0] neg_hi:[1,0,0]
	v_pk_fma_f32 v[188:189], v[70:71], s[44:45], v[12:13]
	v_pk_fma_f32 v[22:23], v[226:227], s[68:69], v[14:15] neg_lo:[1,0,0] neg_hi:[1,0,0]
	v_mov_b32_e32 v21, v189
	v_pk_fma_f32 v[190:191], v[72:73], s[68:69], v[14:15]
	v_accvgpr_write_b32 a92, v30
	v_accvgpr_write_b32 a91, v29
	;; [unrolled: 1-line block ×3, first 2 shown]
	v_mov_b32_e32 v23, v191
	v_pk_add_f32 v[20:21], v[68:69], v[20:21]
	v_pk_mul_f32 v[28:29], v[192:193], s[10:11]
	v_accvgpr_write_b32 a111, v47
	v_pk_add_f32 v[22:23], v[22:23], v[20:21]
	v_pk_fma_f32 v[30:31], v[200:201], s[42:43], v[28:29] neg_lo:[1,0,0] neg_hi:[1,0,0]
	v_pk_fma_f32 v[20:21], v[74:75], s[42:43], v[28:29]
	v_accvgpr_write_b32 a110, v46
	v_accvgpr_write_b32 a109, v45
	;; [unrolled: 1-line block ×3, first 2 shown]
	v_mov_b32_e32 v31, v21
	v_pk_mul_f32 v[44:45], v[196:197], s[20:21]
	v_pk_add_f32 v[30:31], v[30:31], v[22:23]
	v_pk_fma_f32 v[46:47], v[202:203], s[46:47], v[44:45] neg_lo:[1,0,0] neg_hi:[1,0,0]
	v_pk_fma_f32 v[22:23], v[76:77], s[46:47], v[44:45]
	v_accvgpr_write_b32 a77, v19
	v_mov_b32_e32 v47, v23
	v_pk_add_f32 v[30:31], v[46:47], v[30:31]
	v_pk_mul_f32 v[46:47], v[198:199], s[64:65]
	v_accvgpr_write_b32 a76, v18
	v_accvgpr_write_b32 a75, v17
	;; [unrolled: 1-line block ×3, first 2 shown]
	v_pk_fma_f32 v[16:17], v[210:211], s[72:73], v[46:47] neg_lo:[1,0,0] neg_hi:[1,0,0]
	v_pk_fma_f32 v[18:19], v[78:79], s[72:73], v[46:47]
	v_accvgpr_write_b32 a89, v27
	v_mov_b32_e32 v17, v19
	v_pk_add_f32 v[16:17], v[16:17], v[30:31]
	v_pk_mul_f32 v[30:31], v[204:205], s[18:19]
	v_accvgpr_write_b32 a88, v26
	v_accvgpr_write_b32 a87, v25
	;; [unrolled: 1-line block ×3, first 2 shown]
	v_pk_fma_f32 v[24:25], v[212:213], s[50:51], v[30:31] neg_lo:[1,0,0] neg_hi:[1,0,0]
	v_pk_fma_f32 v[26:27], v[80:81], s[50:51], v[30:31]
	v_accvgpr_write_b32 a103, v39
	v_mov_b32_e32 v25, v27
	v_pk_add_f32 v[16:17], v[24:25], v[16:17]
	v_pk_mul_f32 v[24:25], v[206:207], s[26:27]
	v_pk_mul_f32 v[234:235], v[222:223], s[36:37]
	v_pk_fma_f32 v[40:41], v[214:215], s[54:55], v[24:25] neg_lo:[1,0,0] neg_hi:[1,0,0]
	v_pk_fma_f32 v[130:131], v[82:83], s[54:55], v[24:25]
	v_accvgpr_write_b32 a102, v38
	v_mov_b32_e32 v41, v131
	v_pk_add_f32 v[16:17], v[40:41], v[16:17]
	v_pk_mul_f32 v[40:41], v[208:209], s[36:37]
	v_accvgpr_write_b32 a101, v37
	v_pk_fma_f32 v[132:133], v[160:161], s[56:57], v[40:41] neg_lo:[1,0,0] neg_hi:[1,0,0]
	v_pk_fma_f32 v[32:33], v[160:161], s[56:57], v[40:41]
	v_accvgpr_write_b32 a100, v36
	v_mov_b32_e32 v133, v33
	v_pk_add_f32 v[16:17], v[132:133], v[16:17]
	v_pk_mul_f32 v[132:133], v[220:221], s[20:21]
	v_pk_fma_f32 v[36:37], v[226:227], s[56:57], v[234:235] neg_lo:[1,0,0] neg_hi:[1,0,0]
	v_pk_fma_f32 v[136:137], v[224:225], s[46:47], v[132:133] neg_lo:[1,0,0] neg_hi:[1,0,0]
	v_pk_fma_f32 v[232:233], v[70:71], s[46:47], v[132:133]
	v_pk_fma_f32 v[38:39], v[72:73], s[56:57], v[234:235]
	v_mov_b32_e32 v137, v233
	v_mov_b32_e32 v37, v39
	v_pk_add_f32 v[136:137], v[68:69], v[136:137]
	v_accvgpr_write_b32 a118, v57
	v_pk_add_f32 v[36:37], v[36:37], v[136:137]
	v_pk_mul_f32 v[136:137], v[192:193], s[16:17]
	v_accvgpr_write_b32 a99, v56
	v_pk_fma_f32 v[0:1], v[200:201], s[48:49], v[136:137] neg_lo:[1,0,0] neg_hi:[1,0,0]
	v_pk_fma_f32 v[2:3], v[74:75], s[48:49], v[136:137]
	v_accvgpr_write_b32 a123, v59
	v_mov_b32_e32 v1, v3
	v_pk_add_f32 v[0:1], v[0:1], v[36:37]
	v_pk_mul_f32 v[36:37], v[196:197], s[52:53]
	v_accvgpr_write_b32 a122, v58
	v_pk_fma_f32 v[52:53], v[202:203], s[74:75], v[36:37] neg_lo:[1,0,0] neg_hi:[1,0,0]
	v_pk_fma_f32 v[252:253], v[76:77], s[74:75], v[36:37]
	v_pk_mul_f32 v[58:59], v[204:205], s[26:27]
	v_mov_b32_e32 v53, v253
	v_pk_add_f32 v[0:1], v[52:53], v[0:1]
	v_pk_mul_f32 v[52:53], v[198:199], s[10:11]
	v_pk_fma_f32 v[60:61], v[80:81], s[54:55], v[58:59]
	v_pk_fma_f32 v[254:255], v[210:211], s[42:43], v[52:53] neg_lo:[1,0,0] neg_hi:[1,0,0]
	v_pk_fma_f32 v[56:57], v[78:79], s[42:43], v[52:53]
	v_pk_mul_f32 v[62:63], v[206:207], s[38:39]
	v_mov_b32_e32 v255, v57
	v_pk_add_f32 v[0:1], v[254:255], v[0:1]
	v_pk_fma_f32 v[254:255], v[212:213], s[54:55], v[58:59] neg_lo:[1,0,0] neg_hi:[1,0,0]
	v_pk_fma_f32 v[64:65], v[82:83], s[66:67], v[62:63]
	v_mov_b32_e32 v255, v61
	v_pk_add_f32 v[0:1], v[254:255], v[0:1]
	v_pk_fma_f32 v[254:255], v[214:215], s[66:67], v[62:63] neg_lo:[1,0,0] neg_hi:[1,0,0]
	v_pk_mul_f32 v[66:67], v[208:209], s[24:25]
	v_mov_b32_e32 v255, v65
	v_accvgpr_write_b32 a2, v96
	v_pk_add_f32 v[0:1], v[254:255], v[0:1]
	v_pk_fma_f32 v[254:255], v[160:161], s[40:41], v[66:67] neg_lo:[1,0,0] neg_hi:[1,0,0]
	v_pk_fma_f32 v[96:97], v[160:161], s[40:41], v[66:67]
	v_pk_mul_f32 v[222:223], v[222:223], s[34:35]
	v_mov_b32_e32 v255, v97
	v_pk_add_f32 v[0:1], v[254:255], v[0:1]
	ds_write2_b64 v219, v[16:17], v[0:1] offset0:74 offset1:193
	v_pk_mul_f32 v[0:1], v[220:221], s[26:27]
	v_pk_mul_f32 v[192:193], v[192:193], s[20:21]
	v_pk_fma_f32 v[16:17], v[224:225], s[54:55], v[0:1] neg_lo:[1,0,0] neg_hi:[1,0,0]
	v_pk_fma_f32 v[220:221], v[70:71], s[54:55], v[0:1]
	v_pk_fma_f32 v[224:225], v[226:227], s[60:61], v[222:223] neg_lo:[1,0,0] neg_hi:[1,0,0]
	v_mov_b32_e32 v17, v221
	v_pk_fma_f32 v[226:227], v[72:73], s[60:61], v[222:223]
	v_pk_add_f32 v[16:17], v[68:69], v[16:17]
	v_mov_b32_e32 v225, v227
	v_pk_add_f32 v[16:17], v[224:225], v[16:17]
	v_pk_fma_f32 v[200:201], v[200:201], s[46:47], v[192:193] neg_lo:[1,0,0] neg_hi:[1,0,0]
	v_pk_fma_f32 v[224:225], v[74:75], s[46:47], v[192:193]
	v_pk_mul_f32 v[196:197], v[196:197], s[38:39]
	v_mov_b32_e32 v201, v225
	v_pk_add_f32 v[16:17], v[200:201], v[16:17]
	v_pk_fma_f32 v[200:201], v[202:203], s[66:67], v[196:197] neg_lo:[1,0,0] neg_hi:[1,0,0]
	v_pk_fma_f32 v[202:203], v[76:77], s[66:67], v[196:197]
	v_pk_mul_f32 v[198:199], v[198:199], s[22:23]
	v_mov_b32_e32 v201, v203
	v_pk_add_f32 v[16:17], v[200:201], v[16:17]
	v_pk_fma_f32 v[200:201], v[210:211], s[44:45], v[198:199] neg_lo:[1,0,0] neg_hi:[1,0,0]
	v_pk_fma_f32 v[210:211], v[78:79], s[44:45], v[198:199]
	v_pk_fma_f32 v[0:1], v[70:71], s[54:55], v[0:1] neg_lo:[0,0,1] neg_hi:[0,0,1]
	v_mov_b32_e32 v201, v211
	v_pk_add_f32 v[16:17], v[200:201], v[16:17]
	v_pk_mul_f32 v[200:201], v[204:205], s[36:37]
	v_mov_b32_e32 v221, v1
	v_pk_fma_f32 v[204:205], v[212:213], s[56:57], v[200:201] neg_lo:[1,0,0] neg_hi:[1,0,0]
	v_pk_fma_f32 v[212:213], v[80:81], s[56:57], v[200:201]
	v_pk_fma_f32 v[0:1], v[72:73], s[60:61], v[222:223] neg_lo:[0,0,1] neg_hi:[0,0,1]
	v_mov_b32_e32 v205, v213
	v_mov_b32_e32 v227, v1
	v_pk_fma_f32 v[0:1], v[74:75], s[46:47], v[192:193] neg_lo:[0,0,1] neg_hi:[0,0,1]
	v_pk_add_f32 v[16:17], v[204:205], v[16:17]
	v_pk_mul_f32 v[204:205], v[206:207], s[24:25]
	v_mov_b32_e32 v225, v1
	v_pk_fma_f32 v[0:1], v[76:77], s[66:67], v[196:197] neg_lo:[0,0,1] neg_hi:[0,0,1]
	v_pk_fma_f32 v[206:207], v[214:215], s[40:41], v[204:205] neg_lo:[1,0,0] neg_hi:[1,0,0]
	v_pk_fma_f32 v[214:215], v[82:83], s[40:41], v[204:205]
	v_mov_b32_e32 v203, v1
	v_pk_fma_f32 v[0:1], v[78:79], s[44:45], v[198:199] neg_lo:[0,0,1] neg_hi:[0,0,1]
	v_mov_b32_e32 v207, v215
	v_mov_b32_e32 v211, v1
	v_pk_fma_f32 v[0:1], v[80:81], s[56:57], v[200:201] neg_lo:[0,0,1] neg_hi:[0,0,1]
	v_pk_add_f32 v[16:17], v[206:207], v[16:17]
	v_pk_mul_f32 v[206:207], v[208:209], s[64:65]
	v_mov_b32_e32 v213, v1
	v_pk_fma_f32 v[0:1], v[82:83], s[40:41], v[204:205] neg_lo:[0,0,1] neg_hi:[0,0,1]
	v_pk_fma_f32 v[208:209], v[160:161], s[72:73], v[206:207] neg_lo:[1,0,0] neg_hi:[1,0,0]
	v_pk_fma_f32 v[254:255], v[160:161], s[72:73], v[206:207]
	v_mov_b32_e32 v215, v1
	v_pk_fma_f32 v[0:1], v[160:161], s[72:73], v[206:207] neg_lo:[0,0,1] neg_hi:[0,0,1]
	v_mov_b32_e32 v209, v255
	v_mov_b32_e32 v255, v1
	v_pk_add_f32 v[0:1], v[68:69], v[220:221]
	v_pk_add_f32 v[16:17], v[208:209], v[16:17]
	;; [unrolled: 1-line block ×3, first 2 shown]
	v_accvgpr_read_b32 v192, a119
	v_pk_add_f32 v[0:1], v[224:225], v[0:1]
	v_accvgpr_write_b32 a121, v219
	v_pk_add_f32 v[0:1], v[202:203], v[0:1]
	v_mov_b32_e32 v219, 0
	v_pk_add_f32 v[0:1], v[210:211], v[0:1]
	s_movk_i32 s2, 0x3000
	v_pk_add_f32 v[0:1], v[212:213], v[0:1]
	s_mov_b32 s78, s55
	v_pk_add_f32 v[0:1], v[214:215], v[0:1]
	s_mov_b32 s79, s45
	v_pk_add_f32 v[0:1], v[254:255], v[0:1]
	ds_write2_b64 v192, v[16:17], v[0:1] offset0:56 offset1:175
	v_pk_fma_f32 v[0:1], v[70:71], s[46:47], v[132:133] neg_lo:[0,0,1] neg_hi:[0,0,1]
	s_mov_b32 s82, s43
	v_mov_b32_e32 v233, v1
	v_pk_fma_f32 v[0:1], v[72:73], s[56:57], v[234:235] neg_lo:[0,0,1] neg_hi:[0,0,1]
	s_mov_b32 s83, s63
	v_mov_b32_e32 v39, v1
	;; [unrolled: 3-line block ×4, first 2 shown]
	v_pk_fma_f32 v[0:1], v[78:79], s[42:43], v[52:53] neg_lo:[0,0,1] neg_hi:[0,0,1]
	s_nop 0
	v_mov_b32_e32 v57, v1
	v_pk_fma_f32 v[0:1], v[80:81], s[54:55], v[58:59] neg_lo:[0,0,1] neg_hi:[0,0,1]
	s_nop 0
	v_mov_b32_e32 v61, v1
	;; [unrolled: 3-line block ×4, first 2 shown]
	v_pk_add_f32 v[0:1], v[68:69], v[232:233]
	s_nop 0
	v_pk_add_f32 v[0:1], v[38:39], v[0:1]
	s_nop 0
	v_pk_add_f32 v[0:1], v[2:3], v[0:1]
	v_pk_fma_f32 v[2:3], v[70:71], s[44:45], v[12:13] neg_lo:[0,0,1] neg_hi:[0,0,1]
	v_pk_add_f32 v[0:1], v[252:253], v[0:1]
	v_mov_b32_e32 v189, v3
	v_pk_fma_f32 v[2:3], v[72:73], s[68:69], v[14:15] neg_lo:[0,0,1] neg_hi:[0,0,1]
	v_pk_add_f32 v[0:1], v[56:57], v[0:1]
	v_mov_b32_e32 v191, v3
	;; [unrolled: 3-line block ×5, first 2 shown]
	v_pk_fma_f32 v[2:3], v[80:81], s[50:51], v[30:31] neg_lo:[0,0,1] neg_hi:[0,0,1]
	v_accvgpr_read_b32 v44, a120
	v_mov_b32_e32 v27, v3
	v_pk_fma_f32 v[2:3], v[82:83], s[54:55], v[24:25] neg_lo:[0,0,1] neg_hi:[0,0,1]
	s_nop 0
	v_mov_b32_e32 v131, v3
	v_pk_fma_f32 v[2:3], v[160:161], s[56:57], v[40:41] neg_lo:[0,0,1] neg_hi:[0,0,1]
	s_nop 0
	v_mov_b32_e32 v33, v3
	v_pk_add_f32 v[2:3], v[68:69], v[188:189]
	s_nop 0
	v_pk_add_f32 v[2:3], v[190:191], v[2:3]
	s_nop 0
	;; [unrolled: 2-line block ×7, first 2 shown]
	v_pk_add_f32 v[2:3], v[32:33], v[2:3]
	ds_write2_b64 v44, v[0:1], v[2:3] offset0:38 offset1:157
	v_pk_fma_f32 v[0:1], v[70:71], s[40:41], v[86:87] neg_lo:[0,0,1] neg_hi:[0,0,1]
	v_pk_fma_f32 v[2:3], v[70:71], s[48:49], v[54:55] neg_lo:[0,0,1] neg_hi:[0,0,1]
	v_mov_b32_e32 v135, v1
	v_pk_fma_f32 v[0:1], v[72:73], s[70:71], v[50:51] neg_lo:[0,0,1] neg_hi:[0,0,1]
	v_mov_b32_e32 v103, v3
	v_mov_b32_e32 v143, v1
	v_pk_fma_f32 v[0:1], v[74:75], s[66:67], v[42:43] neg_lo:[0,0,1] neg_hi:[0,0,1]
	v_pk_fma_f32 v[2:3], v[72:73], s[54:55], v[98:99] neg_lo:[0,0,1] neg_hi:[0,0,1]
	v_mov_b32_e32 v141, v1
	v_pk_fma_f32 v[0:1], v[76:77], s[62:63], v[34:35] neg_lo:[0,0,1] neg_hi:[0,0,1]
	v_mov_b32_e32 v105, v3
	v_mov_b32_e32 v5, v1
	;; [unrolled: 6-line block ×3, first 2 shown]
	v_pk_fma_f32 v[0:1], v[82:83], s[42:43], v[106:107] neg_lo:[0,0,1] neg_hi:[0,0,1]
	v_pk_fma_f32 v[2:3], v[76:77], s[60:61], v[120:121] neg_lo:[0,0,1] neg_hi:[0,0,1]
	v_mov_b32_e32 v245, v1
	v_pk_fma_f32 v[0:1], v[160:161], s[44:45], v[186:187] neg_lo:[0,0,1] neg_hi:[0,0,1]
	v_mov_b32_e32 v113, v3
	;; [unrolled: 2-line block ×3, first 2 shown]
	v_pk_add_f32 v[0:1], v[68:69], v[134:135]
	v_mov_b32_e32 v115, v3
	v_pk_fma_f32 v[2:3], v[80:81], s[46:47], v[126:127] neg_lo:[0,0,1] neg_hi:[0,0,1]
	v_pk_add_f32 v[0:1], v[142:143], v[0:1]
	v_mov_b32_e32 v117, v3
	v_pk_fma_f32 v[2:3], v[82:83], s[74:75], v[94:95] neg_lo:[0,0,1] neg_hi:[0,0,1]
	;; [unrolled: 3-line block ×3, first 2 shown]
	v_pk_add_f32 v[0:1], v[4:5], v[0:1]
	v_mov_b32_e32 v129, v3
	v_pk_add_f32 v[2:3], v[68:69], v[102:103]
	v_accvgpr_read_b32 v4, a140
	v_pk_add_f32 v[2:3], v[104:105], v[2:3]
	v_accvgpr_read_b32 v5, a141
	v_pk_add_f32 v[2:3], v[110:111], v[2:3]
	v_pk_fma_f32 v[4:5], v[70:71], s[50:51], v[4:5] neg_lo:[0,0,1] neg_hi:[0,0,1]
	v_pk_add_f32 v[2:3], v[112:113], v[2:3]
	v_mov_b32_e32 v167, v5
	v_accvgpr_read_b32 v4, a142
	v_pk_add_f32 v[0:1], v[6:7], v[0:1]
	v_pk_add_f32 v[2:3], v[114:115], v[2:3]
	v_accvgpr_read_b32 v5, a143
	v_pk_add_f32 v[0:1], v[8:9], v[0:1]
	v_pk_add_f32 v[2:3], v[116:117], v[2:3]
	v_pk_fma_f32 v[4:5], v[72:73], s[48:49], v[4:5] neg_lo:[0,0,1] neg_hi:[0,0,1]
	v_pk_add_f32 v[0:1], v[244:245], v[0:1]
	v_pk_add_f32 v[2:3], v[122:123], v[2:3]
	v_mov_b32_e32 v169, v5
	v_accvgpr_read_b32 v4, a144
	v_pk_add_f32 v[0:1], v[48:49], v[0:1]
	v_pk_add_f32 v[2:3], v[128:129], v[2:3]
	v_accvgpr_read_b32 v43, a118
	v_accvgpr_read_b32 v5, a145
	ds_write2_b64 v43, v[0:1], v[2:3] offset0:20 offset1:139
	v_pk_fma_f32 v[2:3], v[70:71], s[62:63], v[164:165] neg_lo:[0,0,1] neg_hi:[0,0,1]
	v_pk_fma_f32 v[4:5], v[74:75], s[44:45], v[4:5] neg_lo:[0,0,1] neg_hi:[0,0,1]
	v_mov_b32_e32 v229, v3
	v_pk_fma_f32 v[2:3], v[72:73], s[44:45], v[158:159] neg_lo:[0,0,1] neg_hi:[0,0,1]
	v_mov_b32_e32 v171, v5
	v_accvgpr_read_b32 v4, a146
	v_mov_b32_e32 v231, v3
	v_pk_fma_f32 v[2:3], v[74:75], s[58:59], v[154:155] neg_lo:[0,0,1] neg_hi:[0,0,1]
	v_accvgpr_read_b32 v5, a147
	v_mov_b32_e32 v237, v3
	v_pk_fma_f32 v[2:3], v[76:77], s[68:69], v[150:151] neg_lo:[0,0,1] neg_hi:[0,0,1]
	v_pk_fma_f32 v[4:5], v[76:77], s[54:55], v[4:5] neg_lo:[0,0,1] neg_hi:[0,0,1]
	v_mov_b32_e32 v239, v3
	v_pk_fma_f32 v[2:3], v[78:79], s[66:67], v[146:147] neg_lo:[0,0,1] neg_hi:[0,0,1]
	v_mov_b32_e32 v173, v5
	v_pk_fma_f32 v[4:5], v[78:79], s[70:71], v[182:183] neg_lo:[0,0,1] neg_hi:[0,0,1]
	v_mov_b32_e32 v241, v3
	v_pk_fma_f32 v[2:3], v[80:81], s[42:43], v[138:139] neg_lo:[0,0,1] neg_hi:[0,0,1]
	v_mov_b32_e32 v175, v5
	v_pk_fma_f32 v[4:5], v[80:81], s[68:69], v[180:181] neg_lo:[0,0,1] neg_hi:[0,0,1]
	v_mov_b32_e32 v243, v3
	v_pk_fma_f32 v[2:3], v[82:83], s[48:49], v[108:109] neg_lo:[0,0,1] neg_hi:[0,0,1]
	v_mov_b32_e32 v185, v5
	v_pk_fma_f32 v[4:5], v[82:83], s[56:57], v[178:179] neg_lo:[0,0,1] neg_hi:[0,0,1]
	v_mov_b32_e32 v249, v3
	v_pk_fma_f32 v[2:3], v[160:161], s[46:47], v[100:101] neg_lo:[0,0,1] neg_hi:[0,0,1]
	v_mov_b32_e32 v195, v5
	v_pk_fma_f32 v[4:5], v[160:161], s[60:61], v[176:177] neg_lo:[0,0,1] neg_hi:[0,0,1]
	v_mov_b32_e32 v251, v3
	v_pk_add_f32 v[2:3], v[68:69], v[228:229]
	v_mov_b32_e32 v217, v5
	v_pk_add_f32 v[4:5], v[68:69], v[166:167]
	v_pk_add_f32 v[2:3], v[230:231], v[2:3]
	;; [unrolled: 1-line block ×15, first 2 shown]
	v_accvgpr_read_b32 v42, a99
	ds_write2_b64 v42, v[2:3], v[4:5] offset0:130 offset1:249
	v_accvgpr_read_b32 v4, a126
	v_accvgpr_read_b32 v5, a127
	v_pk_fma_f32 v[4:5], v[72:73], s[50:51], v[4:5] neg_lo:[0,0,1] neg_hi:[0,0,1]
	v_accvgpr_read_b32 v2, a124
	v_mov_b32_e32 v89, v5
	v_accvgpr_read_b32 v4, a128
	v_accvgpr_read_b32 v5, a129
	v_pk_fma_f32 v[4:5], v[74:75], s[62:63], v[4:5] neg_lo:[0,0,1] neg_hi:[0,0,1]
	v_accvgpr_read_b32 v3, a125
	v_mov_b32_e32 v93, v5
	v_accvgpr_read_b32 v4, a130
	v_accvgpr_read_b32 v5, a131
	v_pk_fma_f32 v[4:5], v[76:77], s[48:49], v[4:5] neg_lo:[0,0,1] neg_hi:[0,0,1]
	v_pk_fma_f32 v[2:3], v[70:71], s[42:43], v[2:3] neg_lo:[0,0,1] neg_hi:[0,0,1]
	v_mov_b32_e32 v145, v5
	v_accvgpr_read_b32 v4, a132
	v_accvgpr_read_b32 v5, a133
	v_pk_fma_f32 v[4:5], v[78:79], s[40:41], v[4:5] neg_lo:[0,0,1] neg_hi:[0,0,1]
	v_mov_b32_e32 v85, v3
	v_mov_b32_e32 v149, v5
	v_accvgpr_read_b32 v4, a134
	v_accvgpr_read_b32 v5, a135
	v_pk_fma_f32 v[4:5], v[80:81], s[44:45], v[4:5] neg_lo:[0,0,1] neg_hi:[0,0,1]
	v_pk_add_f32 v[2:3], v[68:69], v[84:85]
	v_mov_b32_e32 v153, v5
	v_accvgpr_read_b32 v4, a136
	v_pk_add_f32 v[2:3], v[88:89], v[2:3]
	v_accvgpr_read_b32 v5, a137
	v_pk_add_f32 v[2:3], v[92:93], v[2:3]
	v_pk_fma_f32 v[4:5], v[82:83], s[46:47], v[4:5] neg_lo:[0,0,1] neg_hi:[0,0,1]
	v_pk_add_f32 v[2:3], v[144:145], v[2:3]
	v_mov_b32_e32 v157, v5
	v_accvgpr_read_b32 v4, a138
	v_pk_add_f32 v[2:3], v[148:149], v[2:3]
	v_accvgpr_read_b32 v5, a139
	v_pk_add_f32 v[2:3], v[152:153], v[2:3]
	v_pk_fma_f32 v[4:5], v[160:161], s[54:55], v[4:5] neg_lo:[0,0,1] neg_hi:[0,0,1]
	v_pk_add_f32 v[2:3], v[156:157], v[2:3]
	v_mov_b32_e32 v163, v5
	v_lshl_add_u64 v[0:1], s[8:9], 0, v[218:219]
	v_pk_add_f32 v[2:3], v[162:163], v[2:3]
	ds_write_b64 v218, v[2:3] offset:15232
	v_add_co_u32_e64 v2, s[2:3], s2, v0
	s_waitcnt lgkmcnt(0)
	s_nop 0
	v_addc_co_u32_e64 v3, s[2:3], 0, v1, s[2:3]
	s_barrier
	global_load_dwordx2 v[6:7], v[2:3], off offset:3896
	s_mov_b64 s[2:3], 0x3f38
	v_lshl_add_u64 v[2:3], v[0:1], 0, s[2:3]
	global_load_dwordx2 v[8:9], v[2:3], off offset:952
	global_load_dwordx2 v[10:11], v[2:3], off offset:1904
	;; [unrolled: 1-line block ×4, first 2 shown]
	s_movk_i32 s2, 0x5000
	v_add_co_u32_e64 v2, s[2:3], s2, v0
	v_accvgpr_read_b32 v250, a118
	s_nop 0
	v_addc_co_u32_e64 v3, s[2:3], 0, v1, s[2:3]
	global_load_dwordx2 v[16:17], v[2:3], off offset:464
	global_load_dwordx2 v[18:19], v[2:3], off offset:1416
	;; [unrolled: 1-line block ×4, first 2 shown]
	s_movk_i32 s2, 0x6000
	v_add_co_u32_e64 v24, s[2:3], s2, v0
	s_mov_b32 s8, s49
	s_nop 0
	v_addc_co_u32_e64 v25, s[2:3], 0, v1, s[2:3]
	global_load_dwordx2 v[26:27], v[24:25], off offset:176
	global_load_dwordx2 v[28:29], v[24:25], off offset:1128
	global_load_dwordx2 v[30:31], v[24:25], off offset:2080
	global_load_dwordx2 v[32:33], v[24:25], off offset:3032
	s_movk_i32 s2, 0x7000
	global_load_dwordx2 v[24:25], v[24:25], off offset:3984
	v_add_co_u32_e64 v0, s[2:3], s2, v0
	ds_read2_b64 v[2:5], v218 offset1:119
	s_nop 0
	v_addc_co_u32_e64 v1, s[2:3], 0, v1, s[2:3]
	global_load_dwordx2 v[34:35], v[0:1], off offset:840
	global_load_dwordx2 v[36:37], v[0:1], off offset:1792
	;; [unrolled: 1-line block ×3, first 2 shown]
	s_mov_b32 s2, s48
	s_mov_b32 s3, s50
	;; [unrolled: 1-line block ×3, first 2 shown]
	v_accvgpr_read_b32 v219, a1
	s_waitcnt vmcnt(16) lgkmcnt(0)
	v_mul_f32_e32 v38, v3, v7
	v_fma_f32 v38, v2, v6, -v38
	v_mul_f32_e32 v39, v2, v7
	s_waitcnt vmcnt(15)
	v_mul_f32_e32 v2, v5, v9
	v_mul_f32_e32 v1, v4, v9
	v_fmac_f32_e32 v39, v3, v6
	v_fma_f32 v0, v4, v8, -v2
	v_fmac_f32_e32 v1, v5, v8
	ds_write2_b64 v218, v[38:39], v[0:1] offset1:119
	v_accvgpr_read_b32 v38, a123
	ds_read2_b64 v[0:3], v38 offset0:110 offset1:229
	s_waitcnt vmcnt(14) lgkmcnt(0)
	v_mul_f32_e32 v4, v1, v11
	v_mul_f32_e32 v9, v0, v11
	v_fma_f32 v8, v0, v10, -v4
	v_fmac_f32_e32 v9, v1, v10
	v_accvgpr_read_b32 v10, a122
	ds_read2_b64 v[4:7], v10 offset0:92 offset1:211
	s_waitcnt vmcnt(13)
	v_mul_f32_e32 v0, v3, v13
	v_mul_f32_e32 v1, v2, v13
	v_fma_f32 v0, v2, v12, -v0
	v_fmac_f32_e32 v1, v3, v12
	ds_write2_b64 v38, v[8:9], v[0:1] offset0:110 offset1:229
	s_waitcnt vmcnt(12) lgkmcnt(1)
	v_mul_f32_e32 v0, v5, v15
	v_accvgpr_read_b32 v11, a121
	v_fma_f32 v8, v4, v14, -v0
	ds_read2_b64 v[0:3], v11 offset0:74 offset1:193
	v_mul_f32_e32 v9, v4, v15
	v_fmac_f32_e32 v9, v5, v14
	s_waitcnt vmcnt(11)
	v_mul_f32_e32 v4, v7, v17
	v_mul_f32_e32 v5, v6, v17
	v_fma_f32 v4, v6, v16, -v4
	v_fmac_f32_e32 v5, v7, v16
	ds_write2_b64 v10, v[8:9], v[4:5] offset0:92 offset1:211
	s_waitcnt vmcnt(10) lgkmcnt(1)
	v_mul_f32_e32 v4, v1, v19
	v_accvgpr_read_b32 v10, a119
	v_fma_f32 v8, v0, v18, -v4
	ds_read2_b64 v[4:7], v10 offset0:56 offset1:175
	v_mul_f32_e32 v9, v0, v19
	v_fmac_f32_e32 v9, v1, v18
	;; [unrolled: 13-line block ×3, first 2 shown]
	s_waitcnt vmcnt(7)
	v_mul_f32_e32 v4, v7, v27
	v_mul_f32_e32 v5, v6, v27
	v_fma_f32 v4, v6, v26, -v4
	v_fmac_f32_e32 v5, v7, v26
	ds_write2_b64 v10, v[8:9], v[4:5] offset0:56 offset1:175
	s_waitcnt vmcnt(6) lgkmcnt(1)
	v_mul_f32_e32 v4, v1, v29
	v_fma_f32 v8, v0, v28, -v4
	ds_read2_b64 v[4:7], v250 offset0:20 offset1:139
	v_mul_f32_e32 v9, v0, v29
	v_fmac_f32_e32 v9, v1, v28
	s_waitcnt vmcnt(5)
	v_mul_f32_e32 v0, v3, v31
	v_mul_f32_e32 v1, v2, v31
	v_fma_f32 v0, v2, v30, -v0
	v_fmac_f32_e32 v1, v3, v30
	ds_write2_b64 v11, v[8:9], v[0:1] offset0:38 offset1:157
	s_waitcnt vmcnt(4) lgkmcnt(1)
	v_mul_f32_e32 v0, v5, v33
	v_accvgpr_read_b32 v10, a99
	v_fma_f32 v8, v4, v32, -v0
	ds_read2_b64 v[0:3], v10 offset0:130 offset1:249
	v_mul_f32_e32 v9, v4, v33
	v_fmac_f32_e32 v9, v5, v32
	s_waitcnt vmcnt(3)
	v_mul_f32_e32 v4, v7, v25
	v_mul_f32_e32 v5, v6, v25
	v_fma_f32 v4, v6, v24, -v4
	v_fmac_f32_e32 v5, v7, v24
	ds_write2_b64 v250, v[8:9], v[4:5] offset0:20 offset1:139
	s_waitcnt vmcnt(2) lgkmcnt(1)
	v_mul_f32_e32 v4, v1, v35
	v_mul_f32_e32 v5, v0, v35
	v_fma_f32 v4, v0, v34, -v4
	v_fmac_f32_e32 v5, v1, v34
	ds_read_b64 v[0:1], v218 offset:15232
	s_waitcnt vmcnt(1)
	v_mul_f32_e32 v6, v3, v37
	v_mul_f32_e32 v7, v2, v37
	v_fma_f32 v6, v2, v36, -v6
	v_fmac_f32_e32 v7, v3, v36
	s_waitcnt vmcnt(0) lgkmcnt(0)
	v_mul_f32_e32 v2, v1, v41
	v_mul_f32_e32 v3, v0, v41
	v_fma_f32 v2, v0, v40, -v2
	v_fmac_f32_e32 v3, v1, v40
	v_accvgpr_read_b32 v12, a122
	v_accvgpr_read_b32 v13, a121
	ds_write2_b64 v10, v[4:5], v[6:7] offset0:130 offset1:249
	ds_write_b64 v218, v[2:3] offset:15232
	s_waitcnt lgkmcnt(0)
	s_barrier
	ds_read2_b64 v[0:3], v38 offset0:110 offset1:229
	ds_read2_b64 v[68:71], v218 offset1:119
	ds_read2_b64 v[4:7], v13 offset0:74 offset1:193
	ds_read2_b64 v[8:11], v12 offset0:92 offset1:211
	v_accvgpr_read_b32 v14, a119
	s_waitcnt lgkmcnt(3)
	v_mov_b32_e32 v16, v0
	s_waitcnt lgkmcnt(2)
	v_pk_add_f32 v[12:13], v[68:69], v[70:71]
	v_mov_b32_e32 v18, v1
	v_pk_add_f32 v[0:1], v[12:13], v[0:1]
	v_accvgpr_read_b32 v20, a120
	v_pk_add_f32 v[0:1], v[0:1], v[2:3]
	v_accvgpr_read_b32 v15, a99
	s_waitcnt lgkmcnt(0)
	v_pk_add_f32 v[0:1], v[0:1], v[8:9]
	v_mov_b32_e32 v24, v8
	v_mov_b32_e32 v25, v2
	;; [unrolled: 1-line block ×6, first 2 shown]
	v_pk_add_f32 v[2:3], v[0:1], v[10:11]
	ds_read2_b64 v[8:11], v15 offset0:130 offset1:249
	ds_read_b64 v[32:33], v218 offset:15232
	ds_read2_b64 v[12:15], v14 offset0:56 offset1:175
	ds_read2_b64 v[20:23], v20 offset0:38 offset1:157
	;; [unrolled: 1-line block ×3, first 2 shown]
	v_pk_add_f32 v[2:3], v[2:3], v[4:5]
	v_mov_b32_e32 v17, v70
	v_pk_add_f32 v[2:3], v[2:3], v[6:7]
	v_mov_b32_e32 v19, v71
	s_waitcnt lgkmcnt(2)
	v_pk_add_f32 v[2:3], v[2:3], v[12:13]
	v_mov_b32_e32 v34, v10
	v_pk_add_f32 v[2:3], v[2:3], v[14:15]
	v_mov_b32_e32 v35, v32
	s_waitcnt lgkmcnt(1)
	v_pk_add_f32 v[2:3], v[2:3], v[20:21]
	v_mov_b32_e32 v36, v11
	v_mov_b32_e32 v37, v33
	v_pk_add_f32 v[2:3], v[2:3], v[22:23]
	v_pk_add_f32 v[76:77], v[34:35], v[16:17]
	v_pk_add_f32 v[38:39], v[18:19], v[36:37] neg_lo:[0,1] neg_hi:[0,1]
	v_pk_add_f32 v[94:95], v[16:17], v[34:35] neg_lo:[0,1] neg_hi:[0,1]
	s_waitcnt lgkmcnt(0)
	v_pk_add_f32 v[2:3], v[2:3], v[48:49]
	v_pk_mul_f32 v[40:41], v[38:39], s[2:3]
	v_pk_add_f32 v[18:19], v[36:37], v[18:19]
	v_mov_b32_e32 v34, v50
	v_mov_b32_e32 v35, v8
	;; [unrolled: 1-line block ×4, first 2 shown]
	v_pk_add_f32 v[2:3], v[2:3], v[50:51]
	v_mov_b32_e32 v82, v77
	v_mov_b32_e32 v83, v95
	;; [unrolled: 1-line block ×3, first 2 shown]
	v_pk_fma_f32 v[0:1], v[76:77], s[8:9], v[40:41]
	v_pk_fma_f32 v[70:71], v[76:77], s[8:9], v[40:41] neg_lo:[0,0,1] neg_hi:[0,0,1]
	v_pk_mul_f32 v[144:145], v[18:19], s[8:9]
	v_pk_add_f32 v[78:79], v[34:35], v[24:25]
	v_pk_add_f32 v[40:41], v[26:27], v[36:37] neg_lo:[0,1] neg_hi:[0,1]
	s_mov_b32 s8, s54
	s_mov_b32 s9, s44
	v_pk_add_f32 v[146:147], v[24:25], v[34:35] neg_lo:[0,1] neg_hi:[0,1]
	v_pk_add_f32 v[2:3], v[2:3], v[8:9]
	v_mov_b32_e32 v4, v39
	v_pk_mul_f32 v[8:9], v[82:83], s[10:11]
	v_mov_b32_e32 v172, v39
	v_mov_b32_e32 v173, v19
	;; [unrolled: 1-line block ×4, first 2 shown]
	v_pk_mul_f32 v[42:43], v[40:41], s[8:9]
	v_pk_add_f32 v[26:27], v[36:37], v[26:27]
	v_mov_b32_e32 v34, v22
	v_mov_b32_e32 v35, v48
	;; [unrolled: 1-line block ×4, first 2 shown]
	v_pk_add_f32 v[2:3], v[2:3], v[10:11]
	v_pk_fma_f32 v[154:155], v[4:5], s[42:43], v[8:9] neg_lo:[1,0,0] neg_hi:[1,0,0]
	v_pk_fma_f32 v[4:5], v[172:173], s[42:43], v[8:9]
	v_mov_b32_e32 v176, v38
	v_mov_b32_e32 v177, v18
	v_pk_mul_f32 v[10:11], v[76:77], s[18:19]
	v_mov_b32_e32 v84, v79
	v_mov_b32_e32 v85, v147
	;; [unrolled: 1-line block ×6, first 2 shown]
	v_pk_fma_f32 v[8:9], v[172:173], s[42:43], v[8:9] neg_lo:[0,0,1] neg_hi:[0,0,1]
	v_pk_fma_f32 v[44:45], v[78:79], s[78:79], v[42:43]
	v_pk_fma_f32 v[72:73], v[78:79], s[78:79], v[42:43] neg_lo:[0,0,1] neg_hi:[0,0,1]
	v_pk_mul_f32 v[148:149], v[26:27], s[78:79]
	v_pk_add_f32 v[80:81], v[34:35], v[28:29]
	v_pk_add_f32 v[42:43], v[30:31], v[36:37] neg_lo:[0,1] neg_hi:[0,1]
	s_mov_b32 s78, s68
	s_mov_b32 s79, s70
	v_pk_add_f32 v[150:151], v[28:29], v[34:35] neg_lo:[0,1] neg_hi:[0,1]
	v_pk_add_f32 v[2:3], v[2:3], v[32:33]
	v_mov_b32_e32 v155, v5
	v_pk_fma_f32 v[156:157], v[38:39], s[50:51], v[10:11] neg_lo:[1,0,0] neg_hi:[1,0,0]
	v_pk_fma_f32 v[18:19], v[176:177], s[50:51], v[10:11]
	v_mov_b32_e32 v22, v41
	v_pk_mul_f32 v[32:33], v[84:85], s[14:15]
	v_mov_b32_e32 v158, v41
	v_mov_b32_e32 v159, v27
	v_mov_b32_e32 v79, v146
	v_mov_b32_e32 v50, v12
	v_pk_add_f32 v[12:13], v[6:7], v[20:21] neg_lo:[0,1] neg_hi:[0,1]
	v_pk_add_f32 v[6:7], v[20:21], v[6:7]
	v_mov_b32_e32 v5, v9
	v_pk_fma_f32 v[8:9], v[176:177], s[50:51], v[10:11] neg_lo:[0,0,1] neg_hi:[0,0,1]
	v_pk_mul_f32 v[46:47], v[42:43], s[78:79]
	v_pk_add_f32 v[30:31], v[36:37], v[30:31]
	v_mov_b32_e32 v157, v19
	v_pk_fma_f32 v[160:161], v[22:23], s[62:63], v[32:33] neg_lo:[1,0,0] neg_hi:[1,0,0]
	v_pk_fma_f32 v[22:23], v[158:159], s[62:63], v[32:33]
	v_mov_b32_e32 v98, v40
	v_mov_b32_e32 v99, v26
	v_pk_mul_f32 v[26:27], v[78:79], s[16:17]
	v_mov_b32_e32 v88, v81
	v_mov_b32_e32 v89, v151
	;; [unrolled: 1-line block ×3, first 2 shown]
	v_pk_mul_f32 v[170:171], v[6:7], s[82:83]
	v_mov_b32_e32 v19, v9
	v_mov_b32_e32 v213, v7
	v_pk_add_f32 v[4:5], v[68:69], v[4:5]
	v_mov_b32_e32 v113, v6
	v_pk_fma_f32 v[6:7], v[158:159], s[62:63], v[32:33] neg_lo:[0,0,1] neg_hi:[0,0,1]
	v_pk_fma_f32 v[52:53], v[80:81], s[80:81], v[46:47]
	v_pk_fma_f32 v[74:75], v[80:81], s[80:81], v[46:47] neg_lo:[0,0,1] neg_hi:[0,0,1]
	v_pk_mul_f32 v[152:153], v[30:31], s[80:81]
	v_mov_b32_e32 v161, v23
	v_pk_fma_f32 v[162:163], v[40:41], s[48:49], v[26:27] neg_lo:[1,0,0] neg_hi:[1,0,0]
	v_pk_fma_f32 v[34:35], v[98:99], s[48:49], v[26:27]
	v_mov_b32_e32 v36, v43
	v_pk_mul_f32 v[38:39], v[88:89], s[24:25]
	v_mov_b32_e32 v100, v43
	v_mov_b32_e32 v101, v31
	;; [unrolled: 1-line block ×3, first 2 shown]
	v_pk_add_f32 v[90:91], v[48:49], v[50:51]
	s_mov_b32 s80, s60
	s_mov_b32 s81, s56
	v_pk_add_f32 v[168:169], v[50:51], v[48:49] neg_lo:[0,1] neg_hi:[0,1]
	v_pk_add_f32 v[4:5], v[18:19], v[4:5]
	v_mov_b32_e32 v23, v7
	v_pk_fma_f32 v[10:11], v[98:99], s[48:49], v[26:27] neg_lo:[0,0,1] neg_hi:[0,0,1]
	v_mov_b32_e32 v163, v35
	v_pk_fma_f32 v[164:165], v[36:37], s[40:41], v[38:39] neg_lo:[1,0,0] neg_hi:[1,0,0]
	v_pk_fma_f32 v[40:41], v[100:101], s[40:41], v[38:39]
	v_mov_b32_e32 v174, v42
	v_mov_b32_e32 v175, v30
	v_pk_mul_f32 v[30:31], v[80:81], s[22:23]
	v_pk_mul_f32 v[14:15], v[12:13], s[80:81]
	v_mov_b32_e32 v92, v91
	v_mov_b32_e32 v93, v169
	v_pk_add_f32 v[4:5], v[22:23], v[4:5]
	v_mov_b32_e32 v35, v11
	v_pk_fma_f32 v[22:23], v[100:101], s[40:41], v[38:39] neg_lo:[0,0,1] neg_hi:[0,0,1]
	v_mov_b32_e32 v165, v41
	v_pk_fma_f32 v[166:167], v[42:43], s[44:45], v[30:31] neg_lo:[1,0,0] neg_hi:[1,0,0]
	v_pk_fma_f32 v[46:47], v[174:175], s[44:45], v[30:31]
	v_pk_fma_f32 v[54:55], v[90:91], s[82:83], v[14:15]
	v_mov_b32_e32 v56, v13
	v_pk_fma_f32 v[86:87], v[90:91], s[82:83], v[14:15] neg_lo:[0,0,1] neg_hi:[0,0,1]
	v_pk_mul_f32 v[50:51], v[92:93], s[20:21]
	v_mov_b32_e32 v212, v13
	v_mov_b32_e32 v91, v168
	v_pk_add_f32 v[4:5], v[34:35], v[4:5]
	v_mov_b32_e32 v41, v23
	v_pk_fma_f32 v[30:31], v[174:175], s[44:45], v[30:31] neg_lo:[0,0,1] neg_hi:[0,0,1]
	v_mov_b32_e32 v167, v47
	v_pk_fma_f32 v[178:179], v[56:57], s[46:47], v[50:51] neg_lo:[1,0,0] neg_hi:[1,0,0]
	v_pk_fma_f32 v[8:9], v[212:213], s[46:47], v[50:51]
	v_mov_b32_e32 v112, v12
	v_pk_mul_f32 v[6:7], v[90:91], s[26:27]
	v_pk_add_f32 v[4:5], v[40:41], v[4:5]
	v_mov_b32_e32 v47, v31
	v_pk_fma_f32 v[34:35], v[212:213], s[46:47], v[50:51] neg_lo:[0,0,1] neg_hi:[0,0,1]
	v_mov_b32_e32 v179, v9
	v_pk_fma_f32 v[102:103], v[12:13], s[54:55], v[6:7] neg_lo:[1,0,0] neg_hi:[1,0,0]
	v_pk_fma_f32 v[10:11], v[112:113], s[54:55], v[6:7]
	v_pk_add_f32 v[4:5], v[46:47], v[4:5]
	v_mov_b32_e32 v9, v35
	v_pk_fma_f32 v[6:7], v[112:113], s[54:55], v[6:7] neg_lo:[0,0,1] neg_hi:[0,0,1]
	v_mov_b32_e32 v103, v11
	v_pk_add_f32 v[4:5], v[8:9], v[4:5]
	v_mov_b32_e32 v11, v7
	v_pk_fma_f32 v[16:17], v[94:95], s[2:3], v[144:145] neg_lo:[1,0,0] neg_hi:[1,0,0]
	v_pk_add_f32 v[4:5], v[10:11], v[4:5]
	s_barrier
	ds_write2_b64 v219, v[2:3], v[4:5] offset1:1
	v_mov_b32_e32 v2, v1
	v_mov_b32_e32 v3, v17
	v_pk_fma_f32 v[24:25], v[146:147], s[8:9], v[148:149] neg_lo:[1,0,0] neg_hi:[1,0,0]
	v_pk_add_f32 v[2:3], v[68:69], v[2:3]
	v_mov_b32_e32 v1, v16
	v_pk_add_f32 v[0:1], v[0:1], v[2:3]
	v_mov_b32_e32 v2, v45
	v_mov_b32_e32 v3, v25
	v_pk_fma_f32 v[28:29], v[150:151], s[78:79], v[152:153] neg_lo:[1,0,0] neg_hi:[1,0,0]
	v_pk_add_f32 v[0:1], v[2:3], v[0:1]
	v_mov_b32_e32 v45, v24
	v_pk_mul_f32 v[20:21], v[168:169], s[80:81]
	v_pk_add_f32 v[0:1], v[44:45], v[0:1]
	v_mov_b32_e32 v2, v53
	v_mov_b32_e32 v3, v29
	v_pk_add_f32 v[0:1], v[2:3], v[0:1]
	v_mov_b32_e32 v3, v170
	v_mov_b32_e32 v15, v20
	v_pk_fma_f32 v[48:49], v[168:169], s[80:81], v[170:171] neg_lo:[1,0,0] neg_hi:[1,0,0]
	v_pk_add_f32 v[2:3], v[2:3], v[14:15] neg_lo:[0,1] neg_hi:[0,1]
	v_pk_mul_f32 v[114:115], v[172:173], s[62:63]
	v_mov_b32_e32 v48, v55
	v_mov_b32_e32 v55, v3
	v_pk_fma_f32 v[116:117], v[82:83], s[14:15], v[114:115]
	v_pk_fma_f32 v[2:3], v[82:83], s[14:15], v[114:115] neg_lo:[1,0,0] neg_hi:[1,0,0]
	v_pk_mul_f32 v[118:119], v[176:177], s[44:45]
	v_mov_b32_e32 v2, v116
	v_pk_fma_f32 v[120:121], v[76:77], s[22:23], v[118:119]
	v_pk_fma_f32 v[4:5], v[76:77], s[22:23], v[118:119] neg_lo:[1,0,0] neg_hi:[1,0,0]
	v_pk_mul_f32 v[128:129], v[84:85], s[76:77]
	v_pk_mul_f32 v[8:9], v[90:91], s[20:21]
	v_mov_b32_e32 v4, v120
	v_pk_fma_f32 v[122:123], v[158:159], s[58:59], v[128:129]
	v_pk_fma_f32 v[10:11], v[158:159], s[58:59], v[128:129] neg_lo:[0,0,1] neg_hi:[0,0,1]
	v_pk_mul_f32 v[124:125], v[98:99], s[68:69]
	v_pk_add_f32 v[2:3], v[68:69], v[2:3]
	v_pk_mul_f32 v[18:19], v[88:89], s[38:39]
	v_pk_fma_f32 v[184:185], v[12:13], s[46:47], v[8:9] neg_lo:[1,0,0] neg_hi:[1,0,0]
	v_mov_b32_e32 v10, v122
	v_pk_fma_f32 v[126:127], v[78:79], s[28:29], v[124:125]
	v_pk_fma_f32 v[12:13], v[78:79], s[28:29], v[124:125] neg_lo:[1,0,0] neg_hi:[1,0,0]
	v_pk_add_f32 v[2:3], v[4:5], v[2:3]
	v_pk_fma_f32 v[180:181], v[36:37], s[66:67], v[18:19] neg_lo:[1,0,0] neg_hi:[1,0,0]
	v_pk_fma_f32 v[22:23], v[100:101], s[66:67], v[18:19]
	v_pk_mul_f32 v[26:27], v[80:81], s[10:11]
	v_mov_b32_e32 v12, v126
	v_pk_add_f32 v[2:3], v[10:11], v[2:3]
	v_pk_fma_f32 v[4:5], v[100:101], s[66:67], v[18:19] neg_lo:[0,0,1] neg_hi:[0,0,1]
	v_mov_b32_e32 v181, v23
	v_pk_fma_f32 v[104:105], v[42:43], s[42:43], v[26:27] neg_lo:[1,0,0] neg_hi:[1,0,0]
	v_pk_fma_f32 v[30:31], v[174:175], s[42:43], v[26:27]
	v_pk_mul_f32 v[32:33], v[92:93], s[16:17]
	v_pk_add_f32 v[2:3], v[12:13], v[2:3]
	v_mov_b32_e32 v23, v5
	v_pk_fma_f32 v[4:5], v[174:175], s[42:43], v[26:27] neg_lo:[0,0,1] neg_hi:[0,0,1]
	v_mov_b32_e32 v105, v31
	v_pk_fma_f32 v[182:183], v[56:57], s[48:49], v[32:33] neg_lo:[1,0,0] neg_hi:[1,0,0]
	v_pk_fma_f32 v[34:35], v[212:213], s[48:49], v[32:33]
	v_mov_b32_e32 v53, v28
	v_pk_add_f32 v[2:3], v[22:23], v[2:3]
	v_mov_b32_e32 v31, v5
	v_pk_fma_f32 v[4:5], v[212:213], s[48:49], v[32:33] neg_lo:[0,0,1] neg_hi:[0,0,1]
	v_mov_b32_e32 v183, v35
	v_pk_fma_f32 v[6:7], v[112:113], s[46:47], v[8:9]
	v_pk_add_f32 v[0:1], v[52:53], v[0:1]
	v_pk_add_f32 v[2:3], v[30:31], v[2:3]
	v_mov_b32_e32 v35, v5
	v_pk_fma_f32 v[4:5], v[112:113], s[46:47], v[8:9] neg_lo:[0,0,1] neg_hi:[0,0,1]
	v_mov_b32_e32 v185, v7
	v_pk_add_f32 v[0:1], v[48:49], v[0:1]
	v_pk_add_f32 v[2:3], v[34:35], v[2:3]
	v_mov_b32_e32 v7, v5
	v_pk_add_f32 v[0:1], v[54:55], v[0:1]
	v_pk_add_f32 v[2:3], v[6:7], v[2:3]
	ds_write2_b64 v219, v[0:1], v[2:3] offset0:2 offset1:3
	v_pk_mul_f32 v[2:3], v[172:173], s[48:49]
	v_pk_mul_f32 v[6:7], v[176:177], s[54:55]
	v_pk_fma_f32 v[0:1], v[82:83], s[16:17], v[2:3]
	v_pk_fma_f32 v[10:11], v[82:83], s[16:17], v[2:3] neg_lo:[1,0,0] neg_hi:[1,0,0]
	v_pk_fma_f32 v[4:5], v[76:77], s[26:27], v[6:7]
	v_mov_b32_e32 v10, v0
	v_pk_fma_f32 v[12:13], v[76:77], s[26:27], v[6:7] neg_lo:[1,0,0] neg_hi:[1,0,0]
	v_pk_mul_f32 v[192:193], v[158:159], s[68:69]
	v_mov_b32_e32 v12, v4
	v_pk_fma_f32 v[8:9], v[84:85], s[28:29], v[192:193]
	v_pk_fma_f32 v[14:15], v[84:85], s[28:29], v[192:193] neg_lo:[1,0,0] neg_hi:[1,0,0]
	v_pk_mul_f32 v[196:197], v[98:99], s[60:61]
	v_pk_add_f32 v[10:11], v[68:69], v[10:11]
	v_mov_b32_e32 v14, v8
	v_pk_fma_f32 v[194:195], v[78:79], s[34:35], v[196:197]
	v_pk_fma_f32 v[16:17], v[78:79], s[34:35], v[196:197] neg_lo:[1,0,0] neg_hi:[1,0,0]
	v_pk_mul_f32 v[198:199], v[100:101], s[62:63]
	v_pk_add_f32 v[10:11], v[12:13], v[10:11]
	v_mov_b32_e32 v16, v194
	v_pk_fma_f32 v[200:201], v[88:89], s[14:15], v[198:199]
	v_pk_add_f32 v[10:11], v[14:15], v[10:11]
	v_pk_fma_f32 v[12:13], v[88:89], s[14:15], v[198:199] neg_lo:[1,0,0] neg_hi:[1,0,0]
	v_pk_add_f32 v[10:11], v[16:17], v[10:11]
	v_mov_b32_e32 v12, v200
	v_pk_mul_f32 v[208:209], v[174:175], s[46:47]
	v_pk_add_f32 v[10:11], v[12:13], v[10:11]
	v_pk_fma_f32 v[210:211], v[80:81], s[20:21], v[208:209]
	v_pk_fma_f32 v[12:13], v[80:81], s[20:21], v[208:209] neg_lo:[1,0,0] neg_hi:[1,0,0]
	v_pk_mul_f32 v[110:111], v[212:213], s[74:75]
	v_mov_b32_e32 v12, v210
	v_pk_add_f32 v[10:11], v[12:13], v[10:11]
	v_pk_fma_f32 v[202:203], v[92:93], s[52:53], v[110:111]
	v_pk_fma_f32 v[12:13], v[92:93], s[52:53], v[110:111] neg_lo:[1,0,0] neg_hi:[1,0,0]
	v_pk_mul_f32 v[206:207], v[112:113], s[66:67]
	v_mov_b32_e32 v12, v202
	;; [unrolled: 5-line block ×4, first 2 shown]
	v_pk_fma_f32 v[134:135], v[76:77], s[30:31], v[142:143]
	v_pk_fma_f32 v[14:15], v[76:77], s[30:31], v[142:143] neg_lo:[1,0,0] neg_hi:[1,0,0]
	v_pk_add_f32 v[12:13], v[68:69], v[12:13]
	v_mov_b32_e32 v14, v134
	v_pk_mul_f32 v[22:23], v[158:159], s[66:67]
	v_pk_add_f32 v[12:13], v[14:15], v[12:13]
	v_pk_fma_f32 v[20:21], v[84:85], s[38:39], v[22:23]
	v_pk_fma_f32 v[14:15], v[84:85], s[38:39], v[22:23] neg_lo:[1,0,0] neg_hi:[1,0,0]
	v_pk_mul_f32 v[28:29], v[98:99], s[62:63]
	v_mov_b32_e32 v14, v20
	v_pk_add_f32 v[12:13], v[14:15], v[12:13]
	v_pk_fma_f32 v[214:215], v[78:79], s[14:15], v[28:29]
	v_pk_fma_f32 v[14:15], v[78:79], s[14:15], v[28:29] neg_lo:[1,0,0] neg_hi:[1,0,0]
	v_pk_mul_f32 v[226:227], v[100:101], s[54:55]
	v_mov_b32_e32 v14, v214
	;; [unrolled: 5-line block ×6, first 2 shown]
	v_pk_add_f32 v[12:13], v[14:15], v[12:13]
	ds_write2_b64 v219, v[10:11], v[12:13] offset0:4 offset1:5
	v_pk_fma_f32 v[10:11], v[82:83], s[22:23], v[48:49]
	v_pk_fma_f32 v[12:13], v[82:83], s[22:23], v[48:49] neg_lo:[1,0,0] neg_hi:[1,0,0]
	v_pk_mul_f32 v[106:107], v[176:177], s[68:69]
	v_mov_b32_e32 v12, v10
	v_pk_fma_f32 v[50:51], v[76:77], s[28:29], v[106:107]
	v_pk_fma_f32 v[14:15], v[76:77], s[28:29], v[106:107] neg_lo:[1,0,0] neg_hi:[1,0,0]
	v_pk_add_f32 v[12:13], v[68:69], v[12:13]
	v_mov_b32_e32 v14, v50
	v_pk_add_f32 v[26:27], v[14:15], v[12:13]
	v_pk_mul_f32 v[14:15], v[158:159], s[42:43]
	v_pk_mul_f32 v[186:187], v[98:99], s[46:47]
	v_pk_fma_f32 v[12:13], v[84:85], s[10:11], v[14:15]
	v_pk_fma_f32 v[30:31], v[84:85], s[10:11], v[14:15] neg_lo:[1,0,0] neg_hi:[1,0,0]
	v_pk_fma_f32 v[108:109], v[78:79], s[20:21], v[186:187]
	v_mov_b32_e32 v30, v12
	v_pk_add_f32 v[26:27], v[30:31], v[26:27]
	v_pk_fma_f32 v[30:31], v[78:79], s[20:21], v[186:187] neg_lo:[1,0,0] neg_hi:[1,0,0]
	v_pk_mul_f32 v[236:237], v[100:101], s[72:73]
	v_mov_b32_e32 v30, v108
	v_pk_add_f32 v[26:27], v[30:31], v[26:27]
	v_pk_fma_f32 v[190:191], v[88:89], s[64:65], v[236:237]
	v_pk_fma_f32 v[30:31], v[88:89], s[64:65], v[236:237] neg_lo:[1,0,0] neg_hi:[1,0,0]
	v_pk_mul_f32 v[242:243], v[174:175], s[50:51]
	v_mov_b32_e32 v30, v190
	v_pk_add_f32 v[26:27], v[30:31], v[26:27]
	v_pk_fma_f32 v[240:241], v[80:81], s[18:19], v[242:243]
	;; [unrolled: 5-line block ×4, first 2 shown]
	v_pk_fma_f32 v[32:33], v[90:91], s[36:37], v[238:239] neg_lo:[1,0,0] neg_hi:[1,0,0]
	v_pk_mul_f32 v[38:39], v[176:177], s[56:57]
	v_mov_b32_e32 v32, v26
	v_pk_add_f32 v[30:31], v[32:33], v[30:31]
	v_pk_mul_f32 v[32:33], v[172:173], s[46:47]
	v_pk_fma_f32 v[40:41], v[76:77], s[36:37], v[38:39]
	v_pk_fma_f32 v[34:35], v[82:83], s[20:21], v[32:33]
	v_pk_fma_f32 v[36:37], v[82:83], s[20:21], v[32:33] neg_lo:[1,0,0] neg_hi:[1,0,0]
	v_pk_fma_f32 v[42:43], v[76:77], s[36:37], v[38:39] neg_lo:[1,0,0] neg_hi:[1,0,0]
	v_mov_b32_e32 v36, v34
	v_mov_b32_e32 v42, v40
	v_pk_add_f32 v[36:37], v[68:69], v[36:37]
	v_pk_fma_f32 v[32:33], v[82:83], s[20:21], v[32:33] neg_lo:[0,0,1] neg_hi:[0,0,1]
	v_pk_add_f32 v[36:37], v[42:43], v[36:37]
	v_pk_mul_f32 v[42:43], v[158:159], s[48:49]
	v_mov_b32_e32 v33, v35
	v_pk_fma_f32 v[44:45], v[84:85], s[16:17], v[42:43]
	v_pk_fma_f32 v[46:47], v[84:85], s[16:17], v[42:43] neg_lo:[1,0,0] neg_hi:[1,0,0]
	v_pk_fma_f32 v[34:35], v[76:77], s[36:37], v[38:39] neg_lo:[0,0,1] neg_hi:[0,0,1]
	v_mov_b32_e32 v46, v44
	v_pk_add_f32 v[36:37], v[46:47], v[36:37]
	v_pk_mul_f32 v[46:47], v[98:99], s[74:75]
	v_mov_b32_e32 v35, v41
	v_pk_fma_f32 v[52:53], v[78:79], s[52:53], v[46:47]
	v_pk_fma_f32 v[54:55], v[78:79], s[52:53], v[46:47] neg_lo:[1,0,0] neg_hi:[1,0,0]
	v_pk_fma_f32 v[38:39], v[84:85], s[16:17], v[42:43] neg_lo:[0,0,1] neg_hi:[0,0,1]
	v_mov_b32_e32 v54, v52
	v_pk_add_f32 v[36:37], v[54:55], v[36:37]
	v_pk_mul_f32 v[54:55], v[100:101], s[42:43]
	v_pk_add_f32 v[32:33], v[68:69], v[32:33]
	v_pk_fma_f32 v[56:57], v[88:89], s[10:11], v[54:55]
	v_pk_fma_f32 v[58:59], v[88:89], s[10:11], v[54:55] neg_lo:[1,0,0] neg_hi:[1,0,0]
	v_mov_b32_e32 v39, v45
	v_mov_b32_e32 v58, v56
	v_pk_add_f32 v[36:37], v[58:59], v[36:37]
	v_pk_mul_f32 v[58:59], v[174:175], s[54:55]
	v_pk_fma_f32 v[40:41], v[78:79], s[52:53], v[46:47] neg_lo:[0,0,1] neg_hi:[0,0,1]
	v_pk_fma_f32 v[60:61], v[80:81], s[26:27], v[58:59]
	v_pk_fma_f32 v[62:63], v[80:81], s[26:27], v[58:59] neg_lo:[1,0,0] neg_hi:[1,0,0]
	v_pk_add_f32 v[32:33], v[34:35], v[32:33]
	v_mov_b32_e32 v62, v60
	v_pk_add_f32 v[36:37], v[62:63], v[36:37]
	v_pk_mul_f32 v[62:63], v[212:213], s[66:67]
	v_mov_b32_e32 v41, v53
	v_pk_fma_f32 v[42:43], v[88:89], s[10:11], v[54:55] neg_lo:[0,0,1] neg_hi:[0,0,1]
	v_pk_add_f32 v[32:33], v[38:39], v[32:33]
	v_pk_fma_f32 v[64:65], v[92:93], s[38:39], v[62:63]
	v_pk_fma_f32 v[66:67], v[92:93], s[38:39], v[62:63] neg_lo:[1,0,0] neg_hi:[1,0,0]
	v_mov_b32_e32 v43, v57
	v_pk_fma_f32 v[44:45], v[80:81], s[26:27], v[58:59] neg_lo:[0,0,1] neg_hi:[0,0,1]
	v_pk_add_f32 v[32:33], v[40:41], v[32:33]
	v_mov_b32_e32 v66, v64
	v_mov_b32_e32 v45, v61
	v_pk_add_f32 v[32:33], v[42:43], v[32:33]
	v_pk_fma_f32 v[34:35], v[92:93], s[38:39], v[62:63] neg_lo:[0,0,1] neg_hi:[0,0,1]
	v_pk_add_f32 v[36:37], v[66:67], v[36:37]
	v_pk_mul_f32 v[66:67], v[112:113], s[40:41]
	v_pk_add_f32 v[32:33], v[44:45], v[32:33]
	v_mov_b32_e32 v35, v65
	v_pk_fma_f32 v[96:97], v[90:91], s[24:25], v[66:67]
	v_pk_add_f32 v[32:33], v[34:35], v[32:33]
	v_pk_fma_f32 v[34:35], v[90:91], s[24:25], v[66:67] neg_lo:[0,0,1] neg_hi:[0,0,1]
	v_pk_fma_f32 v[14:15], v[84:85], s[10:11], v[14:15] neg_lo:[0,0,1] neg_hi:[0,0,1]
	v_mov_b32_e32 v35, v97
	v_pk_add_f32 v[32:33], v[34:35], v[32:33]
	v_pk_fma_f32 v[34:35], v[82:83], s[22:23], v[48:49] neg_lo:[0,0,1] neg_hi:[0,0,1]
	v_mov_b32_e32 v15, v13
	v_mov_b32_e32 v35, v11
	v_pk_fma_f32 v[10:11], v[76:77], s[28:29], v[106:107] neg_lo:[0,0,1] neg_hi:[0,0,1]
	v_pk_add_f32 v[34:35], v[68:69], v[34:35]
	v_mov_b32_e32 v11, v51
	v_pk_fma_f32 v[12:13], v[78:79], s[20:21], v[186:187] neg_lo:[0,0,1] neg_hi:[0,0,1]
	v_pk_add_f32 v[10:11], v[10:11], v[34:35]
	;; [unrolled: 3-line block ×3, first 2 shown]
	v_pk_fma_f32 v[130:131], v[90:91], s[24:25], v[66:67] neg_lo:[1,0,0] neg_hi:[1,0,0]
	v_mov_b32_e32 v39, v191
	v_pk_fma_f32 v[40:41], v[80:81], s[18:19], v[242:243] neg_lo:[0,0,1] neg_hi:[0,0,1]
	v_pk_add_f32 v[10:11], v[12:13], v[10:11]
	v_mov_b32_e32 v130, v96
	v_mov_b32_e32 v41, v241
	v_pk_add_f32 v[10:11], v[38:39], v[10:11]
	v_pk_fma_f32 v[12:13], v[92:93], s[26:27], v[188:189] neg_lo:[0,0,1] neg_hi:[0,0,1]
	v_pk_add_f32 v[36:37], v[130:131], v[36:37]
	v_pk_add_f32 v[10:11], v[40:41], v[10:11]
	v_mov_b32_e32 v13, v141
	ds_write2_b64 v219, v[30:31], v[36:37] offset0:6 offset1:7
	v_pk_mul_f32 v[30:31], v[172:173], s[54:55]
	v_pk_add_f32 v[10:11], v[12:13], v[10:11]
	v_pk_fma_f32 v[12:13], v[90:91], s[36:37], v[238:239] neg_lo:[0,0,1] neg_hi:[0,0,1]
	v_pk_fma_f32 v[36:37], v[82:83], s[26:27], v[30:31]
	v_pk_fma_f32 v[130:131], v[82:83], s[26:27], v[30:31] neg_lo:[1,0,0] neg_hi:[1,0,0]
	v_pk_mul_f32 v[132:133], v[176:177], s[60:61]
	v_mov_b32_e32 v13, v27
	v_mov_b32_e32 v130, v36
	v_pk_fma_f32 v[136:137], v[76:77], s[34:35], v[132:133]
	v_pk_fma_f32 v[138:139], v[76:77], s[34:35], v[132:133] neg_lo:[1,0,0] neg_hi:[1,0,0]
	v_pk_add_f32 v[10:11], v[12:13], v[10:11]
	v_mov_b32_e32 v138, v136
	v_pk_add_f32 v[130:131], v[68:69], v[130:131]
	ds_write2_b64 v219, v[32:33], v[10:11] offset0:10 offset1:11
	v_pk_fma_f32 v[10:11], v[82:83], s[24:25], v[18:19] neg_lo:[0,0,1] neg_hi:[0,0,1]
	v_pk_add_f32 v[130:131], v[138:139], v[130:131]
	v_pk_mul_f32 v[138:139], v[158:159], s[46:47]
	v_mov_b32_e32 v11, v17
	v_pk_fma_f32 v[12:13], v[76:77], s[30:31], v[142:143] neg_lo:[0,0,1] neg_hi:[0,0,1]
	v_pk_fma_f32 v[172:173], v[84:85], s[20:21], v[138:139]
	v_pk_fma_f32 v[176:177], v[84:85], s[20:21], v[138:139] neg_lo:[1,0,0] neg_hi:[1,0,0]
	v_pk_fma_f32 v[30:31], v[82:83], s[26:27], v[30:31] neg_lo:[0,0,1] neg_hi:[0,0,1]
	v_mov_b32_e32 v13, v135
	v_pk_fma_f32 v[14:15], v[84:85], s[38:39], v[22:23] neg_lo:[0,0,1] neg_hi:[0,0,1]
	v_pk_add_f32 v[10:11], v[68:69], v[10:11]
	v_mov_b32_e32 v176, v172
	v_pk_mul_f32 v[98:99], v[98:99], s[66:67]
	v_mov_b32_e32 v31, v37
	v_pk_fma_f32 v[36:37], v[76:77], s[34:35], v[132:133] neg_lo:[0,0,1] neg_hi:[0,0,1]
	v_mov_b32_e32 v15, v21
	v_pk_fma_f32 v[16:17], v[78:79], s[14:15], v[28:29] neg_lo:[0,0,1] neg_hi:[0,0,1]
	v_pk_add_f32 v[10:11], v[12:13], v[10:11]
	v_pk_add_f32 v[130:131], v[176:177], v[130:131]
	v_pk_fma_f32 v[176:177], v[78:79], s[38:39], v[98:99]
	v_pk_fma_f32 v[232:233], v[78:79], s[38:39], v[98:99] neg_lo:[1,0,0] neg_hi:[1,0,0]
	v_mov_b32_e32 v37, v137
	v_pk_fma_f32 v[132:133], v[84:85], s[20:21], v[138:139] neg_lo:[0,0,1] neg_hi:[0,0,1]
	v_pk_add_f32 v[30:31], v[68:69], v[30:31]
	v_mov_b32_e32 v17, v215
	v_pk_fma_f32 v[18:19], v[88:89], s[26:27], v[226:227] neg_lo:[0,0,1] neg_hi:[0,0,1]
	v_pk_add_f32 v[10:11], v[14:15], v[10:11]
	v_mov_b32_e32 v232, v176
	v_pk_mul_f32 v[100:101], v[100:101], s[44:45]
	v_mov_b32_e32 v133, v173
	v_pk_fma_f32 v[98:99], v[78:79], s[38:39], v[98:99] neg_lo:[0,0,1] neg_hi:[0,0,1]
	v_pk_add_f32 v[30:31], v[36:37], v[30:31]
	v_mov_b32_e32 v19, v223
	v_pk_fma_f32 v[20:21], v[80:81], s[64:65], v[24:25] neg_lo:[0,0,1] neg_hi:[0,0,1]
	v_pk_add_f32 v[10:11], v[16:17], v[10:11]
	v_pk_fma_f32 v[2:3], v[82:83], s[16:17], v[2:3] neg_lo:[0,0,1] neg_hi:[0,0,1]
	v_pk_add_f32 v[130:131], v[232:233], v[130:131]
	v_pk_fma_f32 v[232:233], v[88:89], s[22:23], v[100:101]
	v_pk_fma_f32 v[234:235], v[88:89], s[22:23], v[100:101] neg_lo:[1,0,0] neg_hi:[1,0,0]
	v_mov_b32_e32 v99, v177
	v_pk_add_f32 v[30:31], v[132:133], v[30:31]
	v_mov_b32_e32 v21, v231
	v_pk_add_f32 v[10:11], v[18:19], v[10:11]
	v_pk_fma_f32 v[12:13], v[92:93], s[10:11], v[220:221] neg_lo:[0,0,1] neg_hi:[0,0,1]
	v_mov_b32_e32 v3, v1
	v_pk_fma_f32 v[0:1], v[76:77], s[26:27], v[6:7] neg_lo:[0,0,1] neg_hi:[0,0,1]
	v_mov_b32_e32 v234, v232
	v_pk_mul_f32 v[174:175], v[174:175], s[56:57]
	v_pk_add_f32 v[30:31], v[98:99], v[30:31]
	v_pk_add_f32 v[98:99], v[68:69], v[154:155]
	;; [unrolled: 1-line block ×3, first 2 shown]
	v_mov_b32_e32 v13, v217
	v_mov_b32_e32 v1, v5
	v_pk_fma_f32 v[4:5], v[84:85], s[28:29], v[192:193] neg_lo:[0,0,1] neg_hi:[0,0,1]
	v_pk_add_f32 v[2:3], v[68:69], v[2:3]
	v_pk_add_f32 v[130:131], v[234:235], v[130:131]
	v_pk_fma_f32 v[234:235], v[80:81], s[36:37], v[174:175]
	v_pk_fma_f32 v[244:245], v[80:81], s[36:37], v[174:175] neg_lo:[1,0,0] neg_hi:[1,0,0]
	v_pk_fma_f32 v[100:101], v[88:89], s[22:23], v[100:101] neg_lo:[0,0,1] neg_hi:[0,0,1]
	v_pk_add_f32 v[98:99], v[156:157], v[98:99]
	v_pk_add_f32 v[10:11], v[12:13], v[10:11]
	v_pk_fma_f32 v[12:13], v[90:91], s[22:23], v[228:229] neg_lo:[0,0,1] neg_hi:[0,0,1]
	v_mov_b32_e32 v5, v9
	v_pk_fma_f32 v[6:7], v[78:79], s[34:35], v[196:197] neg_lo:[0,0,1] neg_hi:[0,0,1]
	v_pk_add_f32 v[0:1], v[0:1], v[2:3]
	v_mov_b32_e32 v244, v234
	v_pk_mul_f32 v[212:213], v[212:213], s[40:41]
	v_mov_b32_e32 v101, v233
	v_pk_fma_f32 v[136:137], v[80:81], s[36:37], v[174:175] neg_lo:[0,0,1] neg_hi:[0,0,1]
	v_pk_add_f32 v[98:99], v[160:161], v[98:99]
	v_mov_b32_e32 v13, v225
	v_mov_b32_e32 v7, v195
	v_pk_fma_f32 v[8:9], v[88:89], s[14:15], v[198:199] neg_lo:[0,0,1] neg_hi:[0,0,1]
	v_pk_add_f32 v[0:1], v[4:5], v[0:1]
	v_pk_add_f32 v[130:131], v[244:245], v[130:131]
	v_pk_fma_f32 v[244:245], v[92:93], s[24:25], v[212:213]
	v_pk_fma_f32 v[246:247], v[92:93], s[24:25], v[212:213] neg_lo:[1,0,0] neg_hi:[1,0,0]
	v_mov_b32_e32 v137, v235
	v_pk_add_f32 v[30:31], v[100:101], v[30:31]
	v_pk_fma_f32 v[36:37], v[92:93], s[24:25], v[212:213] neg_lo:[0,0,1] neg_hi:[0,0,1]
	v_pk_add_f32 v[98:99], v[162:163], v[98:99]
	v_pk_add_f32 v[10:11], v[12:13], v[10:11]
	v_mov_b32_e32 v9, v201
	v_pk_fma_f32 v[12:13], v[80:81], s[20:21], v[208:209] neg_lo:[0,0,1] neg_hi:[0,0,1]
	v_pk_add_f32 v[0:1], v[6:7], v[0:1]
	v_mov_b32_e32 v246, v244
	v_pk_mul_f32 v[112:113], v[112:113], s[72:73]
	v_pk_add_f32 v[30:31], v[136:137], v[30:31]
	v_mov_b32_e32 v37, v245
	v_pk_add_f32 v[98:99], v[164:165], v[98:99]
	v_mov_b32_e32 v13, v211
	v_pk_add_f32 v[0:1], v[8:9], v[0:1]
	v_pk_fma_f32 v[2:3], v[92:93], s[52:53], v[110:111] neg_lo:[0,0,1] neg_hi:[0,0,1]
	v_pk_add_f32 v[130:131], v[246:247], v[130:131]
	v_pk_fma_f32 v[246:247], v[90:91], s[64:65], v[112:113]
	v_pk_fma_f32 v[248:249], v[90:91], s[64:65], v[112:113] neg_lo:[1,0,0] neg_hi:[1,0,0]
	v_pk_add_f32 v[30:31], v[36:37], v[30:31]
	v_pk_fma_f32 v[36:37], v[90:91], s[64:65], v[112:113] neg_lo:[0,0,1] neg_hi:[0,0,1]
	v_pk_add_f32 v[98:99], v[166:167], v[98:99]
	v_pk_add_f32 v[0:1], v[12:13], v[0:1]
	v_mov_b32_e32 v3, v203
	v_mov_b32_e32 v248, v246
	;; [unrolled: 1-line block ×3, first 2 shown]
	v_pk_add_f32 v[98:99], v[178:179], v[98:99]
	v_pk_add_f32 v[0:1], v[2:3], v[0:1]
	v_pk_fma_f32 v[2:3], v[90:91], s[38:39], v[206:207] neg_lo:[0,0,1] neg_hi:[0,0,1]
	v_pk_add_f32 v[130:131], v[248:249], v[130:131]
	v_pk_add_f32 v[30:31], v[36:37], v[30:31]
	v_pk_fma_f32 v[36:37], v[146:147], s[8:9], v[148:149]
	v_pk_add_f32 v[146:147], v[102:103], v[98:99]
	v_pk_fma_f32 v[102:103], v[82:83], s[14:15], v[114:115] neg_lo:[0,0,1] neg_hi:[0,0,1]
	v_mov_b32_e32 v3, v205
	ds_write2_b64 v219, v[130:131], v[30:31] offset0:8 offset1:9
	v_pk_fma_f32 v[30:31], v[94:95], s[2:3], v[144:145]
	v_mov_b32_e32 v103, v117
	v_pk_fma_f32 v[112:113], v[76:77], s[22:23], v[118:119] neg_lo:[0,0,1] neg_hi:[0,0,1]
	v_pk_add_f32 v[0:1], v[2:3], v[0:1]
	v_pk_fma_f32 v[98:99], v[158:159], s[58:59], v[128:129] neg_lo:[1,0,0] neg_hi:[1,0,0]
	v_mov_b32_e32 v113, v121
	v_pk_add_f32 v[102:103], v[68:69], v[102:103]
	ds_write2_b64 v219, v[10:11], v[0:1] offset0:12 offset1:13
	v_mov_b32_e32 v0, v71
	v_mov_b32_e32 v1, v31
	v_pk_add_f32 v[102:103], v[112:113], v[102:103]
	v_mov_b32_e32 v99, v123
	v_pk_add_f32 v[0:1], v[68:69], v[0:1]
	;; [unrolled: 2-line block ×3, first 2 shown]
	v_pk_fma_f32 v[102:103], v[78:79], s[28:29], v[124:125] neg_lo:[0,0,1] neg_hi:[0,0,1]
	v_pk_add_f32 v[0:1], v[70:71], v[0:1]
	v_mov_b32_e32 v2, v73
	v_mov_b32_e32 v3, v37
	v_pk_fma_f32 v[94:95], v[150:151], s[78:79], v[152:153]
	v_mov_b32_e32 v103, v127
	v_pk_add_f32 v[0:1], v[2:3], v[0:1]
	v_mov_b32_e32 v73, v36
	v_pk_add_f32 v[98:99], v[102:103], v[98:99]
	v_pk_add_f32 v[0:1], v[72:73], v[0:1]
	v_mov_b32_e32 v2, v75
	v_mov_b32_e32 v3, v95
	v_pk_fma_f32 v[100:101], v[168:169], s[80:81], v[170:171]
	v_pk_add_f32 v[98:99], v[180:181], v[98:99]
	v_pk_add_f32 v[0:1], v[2:3], v[0:1]
	v_mov_b32_e32 v75, v94
	v_pk_add_f32 v[98:99], v[104:105], v[98:99]
	v_pk_add_f32 v[0:1], v[74:75], v[0:1]
	v_mov_b32_e32 v2, v87
	v_mov_b32_e32 v3, v101
	v_pk_add_f32 v[98:99], v[182:183], v[98:99]
	v_pk_add_f32 v[0:1], v[2:3], v[0:1]
	v_mov_b32_e32 v87, v100
	v_pk_add_f32 v[144:145], v[184:185], v[98:99]
	v_pk_add_f32 v[0:1], v[86:87], v[0:1]
	v_add_u32_e32 v2, 0x800, v218
	ds_write2_b64 v219, v[144:145], v[0:1] offset0:14 offset1:15
	ds_write_b64 v219, v[146:147] offset:128
	s_waitcnt lgkmcnt(0)
	s_barrier
	ds_read2_b64 v[72:75], v2 offset0:33 offset1:152
	v_add_u32_e32 v2, 0x1000, v218
	ds_read2_b64 v[76:79], v2 offset0:66 offset1:185
	v_add_u32_e32 v2, 0x1800, v218
	;; [unrolled: 2-line block ×3, first 2 shown]
	ds_read2_b64 v[68:71], v218 offset1:119
	ds_read2_b64 v[88:91], v2 offset0:132 offset1:251
	ds_read2_b64 v[80:83], v250 offset0:37 offset1:156
	v_add_u32_e32 v2, 0x3400, v218
	ds_read2_b64 v[84:87], v2 offset0:70 offset1:189
                                        ; implicit-def: $vgpr104_vgpr105
                                        ; implicit-def: $vgpr102_vgpr103
	s_and_saveexec_b64 s[2:3], s[0:1]
	s_xor_b64 s[0:1], exec, s[2:3]
; %bb.6:
	v_accvgpr_read_b32 v2, a116
	v_accvgpr_read_b32 v3, a117
	v_mov_b32_e32 v102, v0
	v_mov_b32_e32 v103, v3
	;; [unrolled: 1-line block ×4, first 2 shown]
; %bb.7:
	s_andn2_saveexec_b64 s[0:1], s[0:1]
	s_cbranch_execz .LBB0_9
; %bb.8:
	ds_read_b64 v[0:1], v218 offset:8840
	ds_read_b64 v[2:3], v218 offset:15776
	;; [unrolled: 1-line block ×7, first 2 shown]
	s_waitcnt lgkmcnt(6)
	v_mov_b32_e32 v9, v1
	s_waitcnt lgkmcnt(5)
	v_mov_b32_e32 v8, v2
	v_accvgpr_write_b32 a61, v9
	v_accvgpr_write_b32 a60, v8
	;; [unrolled: 1-line block ×4, first 2 shown]
	s_waitcnt lgkmcnt(3)
	v_mov_b32_e32 v102, v4
	s_waitcnt lgkmcnt(1)
	v_mov_b32_e32 v103, v7
	v_mov_b32_e32 v104, v5
	;; [unrolled: 1-line block ×3, first 2 shown]
.LBB0_9:
	s_or_b64 exec, exec, s[0:1]
	v_accvgpr_read_b32 v18, a82
	v_accvgpr_read_b32 v19, a83
	;; [unrolled: 1-line block ×3, first 2 shown]
	s_waitcnt lgkmcnt(4)
	v_pk_mul_f32 v[12:13], v[18:19], v[92:93] op_sel:[0,1] op_sel_hi:[1,0]
	v_accvgpr_read_b32 v107, a71
	v_accvgpr_read_b32 v106, a70
	v_accvgpr_read_b32 v20, a84
	v_accvgpr_read_b32 v21, a85
	v_mov_b32_e32 v12, v13
	v_accvgpr_read_b32 v108, a72
	v_pk_mul_f32 v[0:1], v[106:107], v[72:73] op_sel_hi:[1,0]
	v_mov_b32_e32 v2, v73
	v_pk_mul_f32 v[8:9], v[18:19], v[92:93]
	v_mov_b32_e32 v10, v19
	v_pk_fma_f32 v[12:13], v[18:19], v[92:93], v[12:13] op_sel:[0,1,0] op_sel_hi:[1,0,1] neg_lo:[0,0,1] neg_hi:[0,0,1]
	s_waitcnt lgkmcnt(2)
	v_pk_mul_f32 v[18:19], v[20:21], v[88:89] op_sel:[0,1] op_sel_hi:[1,0]
	v_accvgpr_read_b32 v56, a66
	v_pk_mul_f32 v[4:5], v[108:109], v[76:77] op_sel_hi:[1,0]
	v_mov_b32_e32 v6, v77
	v_mov_b32_e32 v18, v19
	v_accvgpr_read_b32 v57, a67
	v_pk_fma_f32 v[2:3], v[106:107], v[2:3], v[0:1] op_sel:[0,0,1] op_sel_hi:[1,1,0] neg_lo:[0,0,1] neg_hi:[0,0,1]
	v_pk_fma_f32 v[0:1], v[106:107], v[72:73], v[0:1] op_sel:[0,1,1] op_sel_hi:[1,1,0]
	v_pk_mul_f32 v[14:15], v[20:21], v[88:89]
	v_mov_b32_e32 v16, v21
	v_pk_fma_f32 v[18:19], v[20:21], v[88:89], v[18:19] op_sel:[0,1,0] op_sel_hi:[1,0,1] neg_lo:[0,0,1] neg_hi:[0,0,1]
	v_accvgpr_read_b32 v58, a68
	v_accvgpr_read_b32 v59, a69
	s_waitcnt lgkmcnt(1)
	v_pk_mul_f32 v[20:21], v[56:57], v[80:81] op_sel_hi:[1,0]
	v_mov_b32_e32 v22, v81
	v_mov_b32_e32 v3, v1
	v_pk_fma_f32 v[0:1], v[108:109], v[6:7], v[4:5] op_sel:[0,0,1] op_sel_hi:[1,1,0] neg_lo:[0,0,1] neg_hi:[0,0,1]
	v_pk_fma_f32 v[4:5], v[108:109], v[76:77], v[4:5] op_sel:[0,1,1] op_sel_hi:[1,1,0]
	s_waitcnt lgkmcnt(0)
	v_pk_mul_f32 v[24:25], v[58:59], v[84:85] op_sel_hi:[1,0]
	v_mov_b32_e32 v26, v85
	v_mov_b32_e32 v1, v5
	v_pk_fma_f32 v[4:5], v[56:57], v[22:23], v[20:21] op_sel:[0,0,1] op_sel_hi:[1,1,0] neg_lo:[0,0,1] neg_hi:[0,0,1]
	v_pk_fma_f32 v[6:7], v[56:57], v[80:81], v[20:21] op_sel:[0,1,1] op_sel_hi:[1,1,0]
	v_pk_mul_f32 v[10:11], v[10:11], v[92:93] op_sel:[0,1] op_sel_hi:[1,0]
	v_pk_mul_f32 v[16:17], v[16:17], v[88:89] op_sel:[0,1] op_sel_hi:[1,0]
	v_mov_b32_e32 v5, v7
	v_pk_fma_f32 v[6:7], v[58:59], v[26:27], v[24:25] op_sel:[0,0,1] op_sel_hi:[1,1,0] neg_lo:[0,0,1] neg_hi:[0,0,1]
	v_pk_fma_f32 v[20:21], v[58:59], v[84:85], v[24:25] op_sel:[0,1,1] op_sel_hi:[1,1,0]
	v_mov_b32_e32 v15, v2
	v_mov_b32_e32 v7, v21
	;; [unrolled: 1-line block ×5, first 2 shown]
	v_pk_add_f32 v[20:21], v[2:3], v[6:7]
	v_pk_add_f32 v[22:23], v[2:3], v[6:7] neg_lo:[0,1] neg_hi:[0,1]
	v_pk_add_f32 v[24:25], v[0:1], v[4:5]
	v_pk_add_f32 v[26:27], v[0:1], v[4:5] neg_lo:[0,1] neg_hi:[0,1]
	v_pk_add_f32 v[2:3], v[14:15], v[16:17]
	v_pk_add_f32 v[0:1], v[8:9], v[10:11]
	v_mov_b32_e32 v19, v2
	v_mov_b32_e32 v13, v0
	v_pk_add_f32 v[4:5], v[18:19], v[12:13] neg_lo:[0,1] neg_hi:[0,1]
	v_mov_b32_e32 v14, v25
	v_mov_b32_e32 v15, v12
	;; [unrolled: 1-line block ×4, first 2 shown]
	v_pk_add_f32 v[12:13], v[14:15], v[12:13]
	v_pk_add_f32 v[14:15], v[0:1], v[2:3]
	v_mov_b32_e32 v6, v4
	v_mov_b32_e32 v7, v23
	;; [unrolled: 1-line block ×4, first 2 shown]
	s_mov_b32 s2, 0x3f08b237
	v_mov_b32_e32 v2, v14
	v_mov_b32_e32 v16, v25
	;; [unrolled: 1-line block ×3, first 2 shown]
	s_mov_b32 s16, 0x3d64c772
	v_pk_add_f32 v[6:7], v[6:7], v[8:9] neg_lo:[0,1] neg_hi:[0,1]
	s_mov_b32 s3, 0xbeae86e6
	v_mov_b32_e32 v8, v22
	v_mov_b32_e32 v10, v4
	;; [unrolled: 1-line block ×3, first 2 shown]
	v_pk_add_f32 v[16:17], v[2:3], v[16:17] neg_lo:[0,1] neg_hi:[0,1]
	v_mov_b32_e32 v18, v21
	v_mov_b32_e32 v19, v13
	;; [unrolled: 1-line block ×3, first 2 shown]
	v_pk_add_f32 v[12:13], v[12:13], v[14:15]
	s_mov_b32 s17, 0x3f4a47b2
	v_pk_mul_f32 v[6:7], v[6:7], s[2:3]
	v_pk_add_f32 v[8:9], v[8:9], v[10:11] neg_lo:[0,1] neg_hi:[0,1]
	s_mov_b32 s8, s3
	s_mov_b32 s9, s2
	v_pk_add_f32 v[4:5], v[4:5], v[26:27]
	v_pk_add_f32 v[18:19], v[18:19], v[0:1] neg_lo:[0,1] neg_hi:[0,1]
	v_pk_add_f32 v[14:15], v[68:69], v[12:13]
	s_mov_b32 s20, 0x3f955555
	v_pk_mul_f32 v[16:17], v[16:17], s[16:17]
	s_mov_b32 s18, s17
	s_mov_b32 s19, s16
	v_pk_mul_f32 v[10:11], v[8:9], s[8:9]
	v_pk_add_f32 v[4:5], v[4:5], v[22:23]
	s_mov_b32 s0, 0xbee1c552
	v_pk_mul_f32 v[56:57], v[18:19], s[18:19]
	v_pk_fma_f32 v[12:13], v[12:13], s[20:21], v[14:15] op_sel_hi:[1,0,1] neg_lo:[1,0,0] neg_hi:[1,0,0]
	v_pk_fma_f32 v[18:19], v[18:19], s[18:19], v[16:17]
	v_pk_fma_f32 v[8:9], v[8:9], s[8:9], v[6:7]
	v_pk_add_f32 v[18:19], v[18:19], v[12:13]
	v_pk_fma_f32 v[8:9], v[4:5], s[0:1], v[8:9] op_sel_hi:[1,0,1]
	v_accvgpr_read_b32 v24, a43
	v_pk_add_f32 v[58:59], v[18:19], v[8:9]
	v_pk_add_f32 v[8:9], v[18:19], v[8:9] neg_lo:[0,1] neg_hi:[0,1]
	v_mov_b32_e32 v18, v58
	v_mov_b32_e32 v19, v9
	;; [unrolled: 1-line block ×4, first 2 shown]
	v_accvgpr_read_b32 v46, a78
	s_barrier
	ds_write2_b64 v24, v[14:15], v[18:19] offset1:17
	v_pk_add_f32 v[14:15], v[26:27], v[22:23] neg_lo:[0,1] neg_hi:[0,1]
	s_mov_b32 s10, 0xbf5ff5aa
	v_pk_add_f32 v[0:1], v[0:1], v[2:3] neg_lo:[0,1] neg_hi:[0,1]
	s_mov_b32 s14, 0x3f3bfb3b
	v_mov_b32_e32 v2, v56
	v_mov_b32_e32 v3, v17
	;; [unrolled: 1-line block ×6, first 2 shown]
	v_accvgpr_read_b32 v47, a79
	v_pk_fma_f32 v[2:3], v[0:1], s[14:15], v[2:3] op_sel_hi:[1,0,1] neg_lo:[1,0,1] neg_hi:[1,0,1]
	v_pk_fma_f32 v[18:19], v[14:15], s[10:11], v[18:19] op_sel_hi:[1,0,1] neg_lo:[1,0,1] neg_hi:[1,0,1]
	;; [unrolled: 1-line block ×4, first 2 shown]
	v_accvgpr_read_b32 v67, a59
	v_pk_mul_f32 v[40:41], v[46:47], v[94:95] op_sel:[0,1] op_sel_hi:[1,0]
	v_pk_add_f32 v[2:3], v[2:3], v[12:13]
	v_pk_fma_f32 v[18:19], v[4:5], s[0:1], v[18:19] op_sel_hi:[1,0,1]
	v_pk_add_f32 v[0:1], v[0:1], v[12:13]
	v_pk_fma_f32 v[4:5], v[4:5], s[0:1], v[6:7] op_sel_hi:[1,0,1]
	v_accvgpr_read_b32 v65, a57
	v_accvgpr_read_b32 v64, a56
	;; [unrolled: 1-line block ×4, first 2 shown]
	v_mov_b32_e32 v40, v41
	v_pk_add_f32 v[20:21], v[2:3], v[18:19]
	v_pk_add_f32 v[2:3], v[2:3], v[18:19] neg_lo:[0,1] neg_hi:[0,1]
	v_pk_add_f32 v[6:7], v[0:1], v[4:5] neg_lo:[0,1] neg_hi:[0,1]
	v_pk_add_f32 v[0:1], v[0:1], v[4:5]
	v_accvgpr_read_b32 v66, a58
	v_pk_mul_f32 v[28:29], v[64:65], v[74:75] op_sel_hi:[1,0]
	v_mov_b32_e32 v30, v75
	v_pk_mul_f32 v[36:37], v[46:47], v[94:95]
	v_mov_b32_e32 v38, v47
	v_pk_fma_f32 v[40:41], v[46:47], v[94:95], v[40:41] op_sel:[0,1,0] op_sel_hi:[1,0,1] neg_lo:[0,0,1] neg_hi:[0,0,1]
	v_pk_mul_f32 v[46:47], v[48:49], v[90:91] op_sel:[0,1] op_sel_hi:[1,0]
	v_accvgpr_read_b32 v63, a55
	v_mov_b32_e32 v19, v3
	v_mov_b32_e32 v5, v1
	;; [unrolled: 1-line block ×4, first 2 shown]
	v_pk_mul_f32 v[32:33], v[66:67], v[78:79] op_sel_hi:[1,0]
	v_mov_b32_e32 v34, v79
	v_mov_b32_e32 v46, v47
	v_accvgpr_read_b32 v61, a53
	v_accvgpr_read_b32 v60, a52
	v_mov_b32_e32 v18, v20
	v_mov_b32_e32 v4, v6
	ds_write2_b64 v24, v[0:1], v[2:3] offset0:68 offset1:85
	v_pk_fma_f32 v[0:1], v[64:65], v[30:31], v[28:29] op_sel:[0,0,1] op_sel_hi:[1,1,0] neg_lo:[0,0,1] neg_hi:[0,0,1]
	v_pk_fma_f32 v[2:3], v[64:65], v[74:75], v[28:29] op_sel:[0,1,1] op_sel_hi:[1,1,0]
	v_pk_mul_f32 v[42:43], v[48:49], v[90:91]
	v_mov_b32_e32 v44, v49
	v_pk_fma_f32 v[46:47], v[48:49], v[90:91], v[46:47] op_sel:[0,1,0] op_sel_hi:[1,0,1] neg_lo:[0,0,1] neg_hi:[0,0,1]
	v_accvgpr_read_b32 v62, a54
	v_pk_mul_f32 v[48:49], v[60:61], v[82:83] op_sel_hi:[1,0]
	v_mov_b32_e32 v50, v83
	ds_write2_b64 v24, v[18:19], v[4:5] offset0:34 offset1:51
	v_mov_b32_e32 v1, v3
	v_pk_fma_f32 v[2:3], v[66:67], v[34:35], v[32:33] op_sel:[0,0,1] op_sel_hi:[1,1,0] neg_lo:[0,0,1] neg_hi:[0,0,1]
	v_pk_fma_f32 v[4:5], v[66:67], v[78:79], v[32:33] op_sel:[0,1,1] op_sel_hi:[1,1,0]
	v_pk_mul_f32 v[52:53], v[62:63], v[86:87] op_sel_hi:[1,0]
	v_mov_b32_e32 v54, v87
	v_mov_b32_e32 v9, v59
	;; [unrolled: 1-line block ×3, first 2 shown]
	v_pk_fma_f32 v[4:5], v[60:61], v[50:51], v[48:49] op_sel:[0,0,1] op_sel_hi:[1,1,0] neg_lo:[0,0,1] neg_hi:[0,0,1]
	v_pk_fma_f32 v[6:7], v[60:61], v[82:83], v[48:49] op_sel:[0,1,1] op_sel_hi:[1,1,0]
	v_pk_mul_f32 v[38:39], v[38:39], v[94:95] op_sel:[0,1] op_sel_hi:[1,0]
	v_pk_mul_f32 v[44:45], v[44:45], v[90:91] op_sel:[0,1] op_sel_hi:[1,0]
	ds_write_b64 v24, v[8:9] offset:816
	v_mov_b32_e32 v5, v7
	v_pk_fma_f32 v[6:7], v[62:63], v[54:55], v[52:53] op_sel:[0,0,1] op_sel_hi:[1,1,0] neg_lo:[0,0,1] neg_hi:[0,0,1]
	v_pk_fma_f32 v[8:9], v[62:63], v[86:87], v[52:53] op_sel:[0,1,1] op_sel_hi:[1,1,0]
	v_mov_b32_e32 v43, v0
	v_mov_b32_e32 v7, v9
	;; [unrolled: 1-line block ×5, first 2 shown]
	v_pk_add_f32 v[8:9], v[0:1], v[6:7]
	v_pk_add_f32 v[10:11], v[0:1], v[6:7] neg_lo:[0,1] neg_hi:[0,1]
	v_pk_add_f32 v[12:13], v[2:3], v[4:5]
	v_pk_add_f32 v[14:15], v[2:3], v[4:5] neg_lo:[0,1] neg_hi:[0,1]
	v_pk_add_f32 v[0:1], v[42:43], v[44:45]
	v_pk_add_f32 v[2:3], v[36:37], v[38:39]
	v_mov_b32_e32 v47, v0
	v_mov_b32_e32 v41, v2
	v_pk_add_f32 v[4:5], v[46:47], v[40:41] neg_lo:[0,1] neg_hi:[0,1]
	v_mov_b32_e32 v20, v13
	v_mov_b32_e32 v21, v40
	;; [unrolled: 1-line block ×8, first 2 shown]
	v_pk_add_f32 v[20:21], v[20:21], v[22:23]
	v_pk_add_f32 v[22:23], v[2:3], v[0:1]
	v_pk_add_f32 v[6:7], v[6:7], v[16:17] neg_lo:[0,1] neg_hi:[0,1]
	v_mov_b32_e32 v16, v10
	v_mov_b32_e32 v18, v4
	;; [unrolled: 1-line block ×9, first 2 shown]
	v_pk_add_f32 v[16:17], v[16:17], v[18:19] neg_lo:[0,1] neg_hi:[0,1]
	v_pk_add_f32 v[24:25], v[0:1], v[24:25] neg_lo:[0,1] neg_hi:[0,1]
	;; [unrolled: 1-line block ×3, first 2 shown]
	v_pk_mul_f32 v[6:7], v[6:7], s[2:3]
	v_pk_mul_f32 v[18:19], v[16:17], s[8:9]
	v_pk_add_f32 v[4:5], v[4:5], v[14:15]
	v_pk_add_f32 v[20:21], v[20:21], v[22:23]
	v_pk_mul_f32 v[24:25], v[24:25], s[16:17]
	v_pk_mul_f32 v[28:29], v[26:27], s[18:19]
	v_mov_b32_e32 v2, v13
	v_mov_b32_e32 v0, v9
	v_pk_add_f32 v[4:5], v[4:5], v[10:11]
	v_pk_add_f32 v[22:23], v[70:71], v[20:21]
	v_pk_fma_f32 v[26:27], v[26:27], s[18:19], v[24:25]
	v_pk_fma_f32 v[16:17], v[16:17], s[8:9], v[6:7]
	v_pk_add_f32 v[10:11], v[14:15], v[10:11] neg_lo:[0,1] neg_hi:[0,1]
	v_pk_add_f32 v[0:1], v[2:3], v[0:1] neg_lo:[0,1] neg_hi:[0,1]
	v_mov_b32_e32 v2, v28
	v_mov_b32_e32 v3, v25
	;; [unrolled: 1-line block ×6, first 2 shown]
	v_pk_fma_f32 v[20:21], v[20:21], s[20:21], v[22:23] op_sel_hi:[1,0,1] neg_lo:[1,0,0] neg_hi:[1,0,0]
	v_pk_fma_f32 v[2:3], v[0:1], s[14:15], v[2:3] op_sel_hi:[1,0,1] neg_lo:[1,0,1] neg_hi:[1,0,1]
	v_pk_fma_f32 v[8:9], v[10:11], s[10:11], v[8:9] op_sel_hi:[1,0,1] neg_lo:[1,0,1] neg_hi:[1,0,1]
	v_pk_fma_f32 v[0:1], v[0:1], s[14:15], v[24:25] op_sel_hi:[1,0,1] neg_lo:[0,0,1] neg_hi:[0,0,1]
	v_pk_fma_f32 v[6:7], v[10:11], s[10:11], v[6:7] op_sel_hi:[1,0,1] neg_lo:[0,0,1] neg_hi:[0,0,1]
	v_accvgpr_read_b32 v113, a89
	v_accvgpr_read_b32 v125, a111
	;; [unrolled: 1-line block ×5, first 2 shown]
	v_pk_add_f32 v[26:27], v[26:27], v[20:21]
	v_pk_fma_f32 v[16:17], v[4:5], s[0:1], v[16:17] op_sel_hi:[1,0,1]
	v_pk_add_f32 v[2:3], v[2:3], v[20:21]
	v_pk_fma_f32 v[8:9], v[4:5], s[0:1], v[8:9] op_sel_hi:[1,0,1]
	;; [unrolled: 2-line block ×3, first 2 shown]
	v_accvgpr_read_b32 v112, a88
	v_accvgpr_read_b32 v124, a110
	;; [unrolled: 1-line block ×13, first 2 shown]
	v_pk_add_f32 v[30:31], v[26:27], v[16:17]
	v_pk_add_f32 v[16:17], v[26:27], v[16:17] neg_lo:[0,1] neg_hi:[0,1]
	v_pk_add_f32 v[12:13], v[2:3], v[8:9]
	v_pk_add_f32 v[2:3], v[2:3], v[8:9] neg_lo:[0,1] neg_hi:[0,1]
	v_pk_add_f32 v[6:7], v[0:1], v[4:5] neg_lo:[0,1] neg_hi:[0,1]
	v_pk_add_f32 v[0:1], v[0:1], v[4:5]
	v_accvgpr_read_b32 v111, a87
	v_accvgpr_read_b32 v110, a86
	v_mov_b32_e32 v158, v112
	v_mov_b32_e32 v159, v112
	;; [unrolled: 1-line block ×29, first 2 shown]
	v_accvgpr_read_b32 v30, a98
	v_mov_b32_e32 v8, v12
	v_mov_b32_e32 v9, v3
	;; [unrolled: 1-line block ×7, first 2 shown]
	ds_write2_b64 v30, v[22:23], v[26:27] offset1:17
	ds_write2_b64 v30, v[8:9], v[4:5] offset0:34 offset1:51
	ds_write2_b64 v30, v[0:1], v[2:3] offset0:68 offset1:85
	ds_write_b64 v30, v[16:17] offset:816
	s_and_saveexec_b64 s[20:21], vcc
	s_cbranch_execz .LBB0_11
; %bb.10:
	v_accvgpr_read_b32 v43, a41
	v_accvgpr_read_b32 v34, a48
	;; [unrolled: 1-line block ×11, first 2 shown]
	v_mov_b32_e32 v22, v41
	v_mov_b32_e32 v23, v35
	;; [unrolled: 1-line block ×4, first 2 shown]
	v_accvgpr_read_b32 v31, a45
	v_accvgpr_read_b32 v37, a51
	;; [unrolled: 1-line block ×3, first 2 shown]
	v_mov_b32_e32 v21, v27
	v_pk_mul_f32 v[22:23], v[22:23], v[24:25]
	v_pk_mul_f32 v[24:25], v[32:33], v[146:147]
	;; [unrolled: 1-line block ×3, first 2 shown]
	v_accvgpr_read_b32 v42, a40
	v_accvgpr_read_b32 v40, a38
	v_mov_b32_e32 v2, v31
	v_mov_b32_e32 v3, v43
	v_accvgpr_read_b32 v36, a50
	v_mov_b32_e32 v6, v37
	v_mov_b32_e32 v7, v41
	;; [unrolled: 3-line block ×3, first 2 shown]
	v_mov_b32_e32 v16, v103
	v_mov_b32_e32 v17, v146
	;; [unrolled: 1-line block ×6, first 2 shown]
	s_movk_i32 s1, 0x77
	v_accvgpr_read_b32 v11, a3
	v_accvgpr_read_b32 v19, a42
	v_mov_b32_e32 v0, v30
	v_mov_b32_e32 v1, v42
	v_pk_mul_f32 v[2:3], v[2:3], v[104:105]
	v_mov_b32_e32 v4, v36
	v_mov_b32_e32 v5, v40
	v_pk_mul_f32 v[6:7], v[6:7], v[38:39]
	v_mov_b32_e32 v8, v42
	v_mov_b32_e32 v9, v32
	;; [unrolled: 1-line block ×5, first 2 shown]
	v_pk_mul_f32 v[14:15], v[14:15], v[16:17]
	v_mov_b32_e32 v16, v40
	v_mov_b32_e32 v17, v34
	;; [unrolled: 1-line block ×4, first 2 shown]
	v_pk_add_f32 v[24:25], v[28:29], v[24:25]
	v_pk_mul_f32 v[26:27], v[26:27], v[44:45]
	v_mov_b32_e32 v28, v31
	v_mad_legacy_u16 v11, v11, s1, v19
	v_pk_fma_f32 v[26:27], v[36:37], v[38:39], v[26:27] neg_lo:[0,0,1] neg_hi:[0,0,1]
	v_pk_mul_f32 v[28:29], v[28:29], v[102:103]
	v_lshlrev_b32_e32 v38, 3, v11
	v_pk_fma_f32 v[34:35], v[4:5], v[44:45], v[6:7]
	v_pk_fma_f32 v[4:5], v[4:5], v[44:45], v[6:7] neg_lo:[0,0,1] neg_hi:[0,0,1]
	v_pk_fma_f32 v[6:7], v[0:1], v[102:103], v[2:3]
	v_pk_fma_f32 v[0:1], v[0:1], v[102:103], v[2:3] neg_lo:[0,0,1] neg_hi:[0,0,1]
	;; [unrolled: 2-line block ×4, first 2 shown]
	v_pk_fma_f32 v[28:29], v[30:31], v[104:105], v[28:29] neg_lo:[0,0,1] neg_hi:[0,0,1]
	v_mov_b32_e32 v32, v25
	v_mov_b32_e32 v35, v5
	;; [unrolled: 1-line block ×5, first 2 shown]
	v_pk_add_f32 v[30:31], v[26:27], v[28:29]
	v_pk_add_f32 v[32:33], v[24:25], v[32:33]
	;; [unrolled: 1-line block ×4, first 2 shown]
	v_mov_b32_e32 v0, v1
	v_mov_b32_e32 v1, v10
	;; [unrolled: 1-line block ×9, first 2 shown]
	v_pk_add_f32 v[0:1], v[0:1], v[4:5] neg_lo:[0,1] neg_hi:[0,1]
	v_mov_b32_e32 v2, v9
	v_mov_b32_e32 v3, v25
	;; [unrolled: 1-line block ×4, first 2 shown]
	v_pk_add_f32 v[22:23], v[22:23], v[32:33] neg_lo:[0,1] neg_hi:[0,1]
	v_mov_b32_e32 v33, v15
	v_mov_b32_e32 v36, v12
	;; [unrolled: 1-line block ×3, first 2 shown]
	v_pk_add_f32 v[6:7], v[28:29], v[26:27] neg_lo:[0,1] neg_hi:[0,1]
	v_pk_add_f32 v[2:3], v[2:3], v[4:5] neg_lo:[0,1] neg_hi:[0,1]
	;; [unrolled: 1-line block ×3, first 2 shown]
	v_pk_add_f32 v[30:31], v[32:33], v[36:37]
	v_mov_b32_e32 v15, v13
	v_mov_b32_e32 v10, v0
	;; [unrolled: 1-line block ×5, first 2 shown]
	v_pk_add_f32 v[12:13], v[14:15], v[30:31]
	v_mov_b32_e32 v4, v6
	v_mov_b32_e32 v5, v1
	;; [unrolled: 1-line block ×4, first 2 shown]
	v_pk_add_f32 v[10:11], v[10:11], v[16:17] neg_lo:[0,1] neg_hi:[0,1]
	v_pk_mul_f32 v[22:23], v[22:23], s[16:17]
	v_pk_add_f32 v[14:15], v[144:145], v[12:13]
	s_mov_b32 s16, 0xbf955555
	v_pk_add_f32 v[4:5], v[4:5], v[8:9] neg_lo:[0,1] neg_hi:[0,1]
	v_pk_mul_f32 v[10:11], v[10:11], s[2:3]
	v_pk_add_f32 v[0:1], v[0:1], v[2:3]
	v_pk_mul_f32 v[20:21], v[18:19], s[18:19]
	v_pk_fma_f32 v[18:19], v[18:19], s[18:19], v[22:23]
	v_pk_fma_f32 v[12:13], v[12:13], s[16:17], v[14:15] op_sel_hi:[1,0,1]
	v_pk_mul_f32 v[8:9], v[4:5], s[8:9]
	v_pk_fma_f32 v[4:5], v[4:5], s[8:9], v[10:11]
	v_pk_add_f32 v[0:1], v[0:1], v[6:7]
	v_pk_add_f32 v[18:19], v[18:19], v[12:13]
	v_pk_fma_f32 v[4:5], v[0:1], s[0:1], v[4:5] op_sel_hi:[1,0,1]
	v_pk_add_f32 v[2:3], v[2:3], v[6:7] neg_lo:[0,1] neg_hi:[0,1]
	v_pk_add_f32 v[16:17], v[18:19], v[4:5] neg_lo:[0,1] neg_hi:[0,1]
	v_pk_add_f32 v[4:5], v[18:19], v[4:5]
	v_mov_b32_e32 v19, v17
	v_mov_b32_e32 v18, v4
	;; [unrolled: 1-line block ×5, first 2 shown]
	ds_write2_b64 v38, v[14:15], v[18:19] offset1:17
	v_mov_b32_e32 v14, v20
	v_mov_b32_e32 v15, v23
	v_pk_add_f32 v[18:19], v[32:33], v[36:37] neg_lo:[0,1] neg_hi:[0,1]
	v_pk_fma_f32 v[6:7], v[2:3], s[10:11], v[6:7] op_sel_hi:[1,0,1] neg_lo:[1,0,1] neg_hi:[1,0,1]
	v_pk_fma_f32 v[2:3], v[2:3], s[10:11], v[10:11] op_sel_hi:[1,0,1] neg_lo:[0,0,1] neg_hi:[0,0,1]
	v_mov_b32_e32 v23, v21
	v_pk_fma_f32 v[14:15], v[18:19], s[14:15], v[14:15] op_sel_hi:[1,0,1] neg_lo:[1,0,1] neg_hi:[1,0,1]
	v_pk_fma_f32 v[6:7], v[0:1], s[0:1], v[6:7] op_sel_hi:[1,0,1]
	v_pk_fma_f32 v[0:1], v[0:1], s[0:1], v[2:3] op_sel_hi:[1,0,1]
	v_pk_fma_f32 v[2:3], v[18:19], s[14:15], v[22:23] op_sel_hi:[1,0,1] neg_lo:[0,0,1] neg_hi:[0,0,1]
	v_pk_add_f32 v[14:15], v[14:15], v[12:13]
	v_pk_add_f32 v[2:3], v[2:3], v[12:13]
	v_pk_add_f32 v[24:25], v[14:15], v[6:7] neg_lo:[0,1] neg_hi:[0,1]
	v_pk_add_f32 v[6:7], v[14:15], v[6:7]
	v_pk_add_f32 v[8:9], v[2:3], v[0:1]
	v_pk_add_f32 v[0:1], v[2:3], v[0:1] neg_lo:[0,1] neg_hi:[0,1]
	v_mov_b32_e32 v14, v6
	v_mov_b32_e32 v15, v25
	;; [unrolled: 1-line block ×7, first 2 shown]
	ds_write2_b64 v38, v[14:15], v[2:3] offset0:34 offset1:51
	ds_write2_b64 v38, v[8:9], v[24:25] offset0:68 offset1:85
	ds_write_b64 v38, v[16:17] offset:816
.LBB0_11:
	s_or_b64 exec, exec, s[20:21]
	v_add_u32_e32 v8, 0x1c00, v218
	s_waitcnt lgkmcnt(0)
	s_barrier
	ds_read2_b64 v[0:3], v8 offset0:56 offset1:175
	v_add_u32_e32 v12, 0x2400, v218
	v_accvgpr_write_b32 a39, v8
	ds_read2_b64 v[8:11], v12 offset0:38 offset1:157
	v_add_u32_e32 v16, 0x2c00, v218
	s_waitcnt lgkmcnt(1)
	v_pk_mul_f32 v[22:23], v[112:113], v[0:1]
	v_accvgpr_write_b32 a38, v12
	v_pk_fma_f32 v[30:31], v[158:159], v[0:1], v[22:23] op_sel:[0,0,1] op_sel_hi:[1,1,0]
	v_pk_fma_f32 v[0:1], v[158:159], v[0:1], v[22:23] op_sel:[0,0,1] op_sel_hi:[1,1,0] neg_lo:[0,0,1] neg_hi:[0,0,1]
	ds_read2_b64 v[12:15], v16 offset0:20 offset1:139
	v_mov_b32_e32 v31, v1
	v_pk_mul_f32 v[0:1], v[122:123], v[2:3]
	v_add_u32_e32 v20, 0x3000, v218
	v_pk_fma_f32 v[32:33], v[156:157], v[2:3], v[0:1] op_sel:[0,0,1] op_sel_hi:[1,1,0]
	v_pk_fma_f32 v[0:1], v[156:157], v[2:3], v[0:1] op_sel:[0,0,1] op_sel_hi:[1,1,0] neg_lo:[0,0,1] neg_hi:[0,0,1]
	v_accvgpr_write_b32 a3, v16
	v_mov_b32_e32 v33, v1
	s_waitcnt lgkmcnt(1)
	v_pk_mul_f32 v[0:1], v[124:125], v[8:9]
	ds_read2_b64 v[16:19], v20 offset0:130 offset1:249
	v_pk_fma_f32 v[26:27], v[154:155], v[8:9], v[0:1] op_sel:[0,0,1] op_sel_hi:[1,1,0]
	v_pk_fma_f32 v[0:1], v[154:155], v[8:9], v[0:1] op_sel:[0,0,1] op_sel_hi:[1,1,0] neg_lo:[0,0,1] neg_hi:[0,0,1]
	v_accvgpr_write_b32 a1, v20
	v_mov_b32_e32 v27, v1
	v_pk_mul_f32 v[0:1], v[118:119], v[10:11]
	ds_read_b64 v[20:21], v218 offset:15232
	v_pk_fma_f32 v[22:23], v[152:153], v[10:11], v[0:1] op_sel:[0,0,1] op_sel_hi:[1,1,0]
	v_pk_fma_f32 v[0:1], v[152:153], v[10:11], v[0:1] op_sel:[0,0,1] op_sel_hi:[1,1,0] neg_lo:[0,0,1] neg_hi:[0,0,1]
	v_add_u32_e32 v219, 0x400, v218
	v_mov_b32_e32 v23, v1
	s_waitcnt lgkmcnt(2)
	v_pk_mul_f32 v[0:1], v[120:121], v[12:13]
	ds_read2_b64 v[4:7], v219 offset0:110 offset1:229
	v_pk_fma_f32 v[24:25], v[150:151], v[12:13], v[0:1] op_sel:[0,0,1] op_sel_hi:[1,1,0]
	v_pk_fma_f32 v[0:1], v[150:151], v[12:13], v[0:1] op_sel:[0,0,1] op_sel_hi:[1,1,0] neg_lo:[0,0,1] neg_hi:[0,0,1]
	v_add_u32_e32 v12, 0xc00, v218
	v_mov_b32_e32 v25, v1
	v_pk_mul_f32 v[0:1], v[126:127], v[14:15]
	ds_read2_b64 v[8:11], v12 offset0:92 offset1:211
	v_pk_fma_f32 v[28:29], v[148:149], v[14:15], v[0:1] op_sel:[0,0,1] op_sel_hi:[1,1,0]
	v_pk_fma_f32 v[0:1], v[148:149], v[14:15], v[0:1] op_sel:[0,0,1] op_sel_hi:[1,1,0] neg_lo:[0,0,1] neg_hi:[0,0,1]
	v_accvgpr_read_b32 v38, a94
	v_mov_b32_e32 v29, v1
	s_waitcnt lgkmcnt(3)
	v_pk_mul_f32 v[0:1], v[128:129], v[16:17]
	v_accvgpr_read_b32 v39, a95
	v_pk_fma_f32 v[34:35], v[142:143], v[16:17], v[0:1] op_sel:[0,0,1] op_sel_hi:[1,1,0]
	v_pk_fma_f32 v[0:1], v[142:143], v[16:17], v[0:1] op_sel:[0,0,1] op_sel_hi:[1,1,0] neg_lo:[0,0,1] neg_hi:[0,0,1]
	v_mov_b32_e32 v96, v12
	v_mov_b32_e32 v35, v1
	v_pk_mul_f32 v[0:1], v[114:115], v[18:19]
	v_accvgpr_read_b32 v40, a96
	v_pk_fma_f32 v[16:17], v[100:101], v[18:19], v[0:1] op_sel:[0,0,1] op_sel_hi:[1,1,0]
	v_pk_fma_f32 v[0:1], v[100:101], v[18:19], v[0:1] op_sel:[0,0,1] op_sel_hi:[1,1,0] neg_lo:[0,0,1] neg_hi:[0,0,1]
	v_accvgpr_read_b32 v41, a97
	v_mov_b32_e32 v17, v1
	s_waitcnt lgkmcnt(2)
	v_pk_mul_f32 v[0:1], v[116:117], v[20:21]
	s_mov_b32 s18, 0xbeb8f4ab
	v_pk_fma_f32 v[18:19], v[98:99], v[20:21], v[0:1] op_sel:[0,0,1] op_sel_hi:[1,1,0]
	v_pk_fma_f32 v[0:1], v[98:99], v[20:21], v[0:1] op_sel:[0,0,1] op_sel_hi:[1,1,0] neg_lo:[0,0,1] neg_hi:[0,0,1]
	v_add_u32_e32 v20, 0x1400, v218
	ds_read2_b64 v[12:15], v20 offset0:74 offset1:193
	v_accvgpr_write_b32 a40, v20
	s_waitcnt lgkmcnt(2)
	v_pk_mul_f32 v[20:21], v[38:39], v[6:7] op_sel:[1,0]
	v_mov_b32_e32 v19, v1
	v_pk_fma_f32 v[36:37], v[38:39], v[6:7], v[20:21] op_sel:[0,0,1] op_sel_hi:[1,1,0]
	v_pk_fma_f32 v[6:7], v[38:39], v[6:7], v[20:21] op_sel:[0,0,1] op_sel_hi:[0,1,0] neg_lo:[0,0,1] neg_hi:[0,0,1]
	v_mov_b32_e32 v37, v7
	s_waitcnt lgkmcnt(1)
	v_pk_mul_f32 v[6:7], v[40:41], v[8:9] op_sel:[1,0]
	ds_read2_b64 v[0:3], v218 offset1:119
	v_pk_fma_f32 v[20:21], v[40:41], v[8:9], v[6:7] op_sel:[0,0,1] op_sel_hi:[1,1,0]
	v_pk_fma_f32 v[6:7], v[40:41], v[8:9], v[6:7] op_sel:[0,0,1] op_sel_hi:[0,1,0] neg_lo:[0,0,1] neg_hi:[0,0,1]
	v_accvgpr_read_b32 v40, a90
	v_accvgpr_read_b32 v41, a91
	v_mov_b32_e32 v21, v7
	v_pk_mul_f32 v[6:7], v[40:41], v[10:11] op_sel:[1,0]
	v_accvgpr_read_b32 v42, a92
	v_accvgpr_read_b32 v43, a93
	v_pk_fma_f32 v[38:39], v[40:41], v[10:11], v[6:7] op_sel:[0,0,1] op_sel_hi:[1,1,0]
	v_pk_fma_f32 v[6:7], v[40:41], v[10:11], v[6:7] op_sel:[0,0,1] op_sel_hi:[0,1,0] neg_lo:[0,0,1] neg_hi:[0,0,1]
	v_mov_b32_e32 v39, v7
	s_waitcnt lgkmcnt(1)
	v_pk_mul_f32 v[6:7], v[42:43], v[12:13] op_sel:[1,0]
	s_mov_b32 s10, 0x3f6eb680
	v_pk_fma_f32 v[40:41], v[42:43], v[12:13], v[6:7] op_sel:[0,0,1] op_sel_hi:[1,1,0]
	v_pk_fma_f32 v[6:7], v[42:43], v[12:13], v[6:7] op_sel:[0,0,1] op_sel_hi:[0,1,0] neg_lo:[0,0,1] neg_hi:[0,0,1]
	v_mov_b32_e32 v41, v7
	v_pk_mul_f32 v[6:7], v[110:111], v[14:15] op_sel:[1,0]
	v_accvgpr_read_b32 v10, a74
	v_pk_fma_f32 v[42:43], v[110:111], v[14:15], v[6:7] op_sel:[0,0,1] op_sel_hi:[1,1,0]
	v_pk_fma_f32 v[6:7], v[110:111], v[14:15], v[6:7] op_sel:[0,0,1] op_sel_hi:[0,1,0] neg_lo:[0,0,1] neg_hi:[0,0,1]
	v_accvgpr_read_b32 v11, a75
	v_mov_b32_e32 v43, v7
	s_waitcnt lgkmcnt(0)
	v_pk_mul_f32 v[6:7], v[10:11], v[2:3] op_sel:[1,0]
	v_accvgpr_read_b32 v12, a76
	v_accvgpr_read_b32 v13, a77
	v_pk_fma_f32 v[8:9], v[10:11], v[2:3], v[6:7] op_sel:[0,0,1] op_sel_hi:[1,1,0]
	v_pk_fma_f32 v[2:3], v[10:11], v[2:3], v[6:7] op_sel:[0,0,1] op_sel_hi:[0,1,0] neg_lo:[0,0,1] neg_hi:[0,0,1]
	v_mov_b32_e32 v9, v3
	v_pk_mul_f32 v[2:3], v[12:13], v[4:5] op_sel:[1,0]
	v_pk_add_f32 v[102:103], v[8:9], v[18:19] neg_lo:[0,1] neg_hi:[0,1]
	v_pk_fma_f32 v[6:7], v[12:13], v[4:5], v[2:3] op_sel:[0,0,1] op_sel_hi:[1,1,0]
	v_pk_fma_f32 v[2:3], v[12:13], v[4:5], v[2:3] op_sel:[0,0,1] op_sel_hi:[0,1,0] neg_lo:[0,0,1] neg_hi:[0,0,1]
	v_mov_b32_e32 v7, v3
	v_pk_add_f32 v[2:3], v[0:1], v[8:9]
	v_pk_add_f32 v[94:95], v[8:9], v[18:19]
	;; [unrolled: 1-line block ×3, first 2 shown]
	v_pk_mul_f32 v[4:5], v[102:103], s[18:19] op_sel_hi:[1,0]
	v_pk_add_f32 v[2:3], v[2:3], v[36:37]
	v_pk_fma_f32 v[8:9], v[94:95], s[10:11], v[4:5] op_sel:[0,0,1] op_sel_hi:[1,0,0]
	v_pk_add_f32 v[2:3], v[2:3], v[20:21]
	v_pk_fma_f32 v[204:205], v[94:95], s[10:11], v[4:5] op_sel:[0,0,1] op_sel_hi:[1,0,0] neg_lo:[0,0,1] neg_hi:[0,0,1]
	v_pk_add_f32 v[2:3], v[2:3], v[38:39]
	v_accvgpr_write_b32 a41, v9
	v_pk_add_f32 v[2:3], v[2:3], v[40:41]
	v_mov_b32_e32 v9, v205
	v_pk_add_f32 v[2:3], v[2:3], v[42:43]
	v_pk_add_f32 v[106:107], v[6:7], v[16:17] neg_lo:[0,1] neg_hi:[0,1]
	v_pk_add_f32 v[2:3], v[2:3], v[30:31]
	s_mov_b32 s30, 0xbf2c7751
	v_pk_add_f32 v[2:3], v[2:3], v[32:33]
	v_pk_add_f32 v[10:11], v[0:1], v[8:9]
	;; [unrolled: 1-line block ×5, first 2 shown]
	s_mov_b32 s0, 0x3f3d2fb0
	v_pk_mul_f32 v[8:9], v[106:107], s[30:31] op_sel_hi:[1,0]
	v_pk_add_f32 v[2:3], v[2:3], v[24:25]
	v_pk_fma_f32 v[12:13], v[104:105], s[0:1], v[8:9] op_sel:[0,0,1] op_sel_hi:[1,0,0]
	v_pk_fma_f32 v[196:197], v[104:105], s[0:1], v[8:9] op_sel:[0,0,1] op_sel_hi:[1,0,0] neg_lo:[0,0,1] neg_hi:[0,0,1]
	v_pk_add_f32 v[2:3], v[2:3], v[28:29]
	v_accvgpr_write_b32 a43, v13
	v_mov_b32_e32 v13, v197
	v_pk_add_f32 v[110:111], v[36:37], v[34:35] neg_lo:[0,1] neg_hi:[0,1]
	s_mov_b32 s42, 0xbf65296c
	v_pk_add_f32 v[2:3], v[2:3], v[34:35]
	v_pk_add_f32 v[14:15], v[12:13], v[10:11]
	;; [unrolled: 1-line block ×3, first 2 shown]
	s_mov_b32 s2, 0x3ee437d1
	v_pk_mul_f32 v[12:13], v[110:111], s[42:43] op_sel_hi:[1,0]
	v_pk_add_f32 v[2:3], v[2:3], v[16:17]
	v_pk_fma_f32 v[16:17], v[108:109], s[2:3], v[12:13] op_sel:[0,0,1] op_sel_hi:[1,0,0]
	v_pk_fma_f32 v[194:195], v[108:109], s[2:3], v[12:13] op_sel:[0,0,1] op_sel_hi:[1,0,0] neg_lo:[0,0,1] neg_hi:[0,0,1]
	v_accvgpr_write_b32 a45, v17
	v_mov_b32_e32 v17, v195
	v_pk_add_f32 v[114:115], v[20:21], v[28:29] neg_lo:[0,1] neg_hi:[0,1]
	s_mov_b32 s28, 0xbf7ee86f
	v_pk_add_f32 v[44:45], v[2:3], v[18:19]
	v_pk_add_f32 v[18:19], v[16:17], v[14:15]
	;; [unrolled: 1-line block ×3, first 2 shown]
	s_mov_b32 s8, 0x3dbcf732
	v_pk_mul_f32 v[16:17], v[114:115], s[28:29] op_sel_hi:[1,0]
	v_pk_add_f32 v[118:119], v[38:39], v[24:25] neg_lo:[0,1] neg_hi:[0,1]
	v_pk_fma_f32 v[20:21], v[112:113], s[8:9], v[16:17] op_sel:[0,0,1] op_sel_hi:[1,0,0]
	v_pk_fma_f32 v[192:193], v[112:113], s[8:9], v[16:17] op_sel:[0,0,1] op_sel_hi:[1,0,0] neg_lo:[0,0,1] neg_hi:[0,0,1]
	v_accvgpr_write_b32 a47, v21
	v_mov_b32_e32 v21, v193
	s_mov_b32 s16, 0xbf763a35
	v_pk_add_f32 v[28:29], v[20:21], v[18:19]
	v_pk_add_f32 v[116:117], v[38:39], v[24:25]
	s_mov_b32 s14, 0xbe8c1d8e
	v_pk_mul_f32 v[20:21], v[118:119], s[16:17] op_sel_hi:[1,0]
	v_pk_add_f32 v[122:123], v[40:41], v[22:23] neg_lo:[0,1] neg_hi:[0,1]
	v_pk_fma_f32 v[24:25], v[116:117], s[14:15], v[20:21] op_sel:[0,0,1] op_sel_hi:[1,0,0]
	v_pk_fma_f32 v[20:21], v[116:117], s[14:15], v[20:21] op_sel:[0,0,1] op_sel_hi:[1,0,0] neg_lo:[0,0,1] neg_hi:[0,0,1]
	v_accvgpr_write_b32 a49, v25
	v_mov_b32_e32 v25, v21
	s_mov_b32 s22, 0xbf4c4adb
	v_pk_add_f32 v[28:29], v[24:25], v[28:29]
	v_pk_add_f32 v[120:121], v[40:41], v[22:23]
	s_mov_b32 s20, 0xbf1a4643
	v_pk_mul_f32 v[24:25], v[122:123], s[22:23] op_sel_hi:[1,0]
	v_pk_add_f32 v[126:127], v[42:43], v[26:27] neg_lo:[0,1] neg_hi:[0,1]
	v_pk_fma_f32 v[22:23], v[120:121], s[20:21], v[24:25] op_sel:[0,0,1] op_sel_hi:[1,0,0]
	v_pk_fma_f32 v[24:25], v[120:121], s[20:21], v[24:25] op_sel:[0,0,1] op_sel_hi:[1,0,0] neg_lo:[0,0,1] neg_hi:[0,0,1]
	v_mov_b32_e32 v34, v22
	v_mov_b32_e32 v35, v25
	s_mov_b32 s26, 0xbf06c442
	v_pk_add_f32 v[34:35], v[34:35], v[28:29]
	v_pk_add_f32 v[124:125], v[42:43], v[26:27]
	s_mov_b32 s24, 0xbf59a7d5
	v_pk_mul_f32 v[28:29], v[126:127], s[26:27] op_sel_hi:[1,0]
	v_pk_add_f32 v[130:131], v[30:31], v[32:33] neg_lo:[0,1] neg_hi:[0,1]
	s_mov_b32 s36, 0xbe3c28d5
	v_pk_fma_f32 v[26:27], v[124:125], s[24:25], v[28:29] op_sel:[0,0,1] op_sel_hi:[1,0,0]
	v_pk_fma_f32 v[28:29], v[124:125], s[24:25], v[28:29] op_sel:[0,0,1] op_sel_hi:[1,0,0] neg_lo:[0,0,1] neg_hi:[0,0,1]
	v_pk_add_f32 v[128:129], v[30:31], v[32:33]
	s_mov_b32 s34, 0xbf7ba420
	v_pk_mul_f32 v[32:33], v[130:131], s[36:37] op_sel_hi:[1,0]
	v_mov_b32_e32 v36, v26
	v_mov_b32_e32 v37, v29
	v_pk_fma_f32 v[30:31], v[128:129], s[34:35], v[32:33] op_sel:[0,0,1] op_sel_hi:[1,0,0]
	v_pk_fma_f32 v[32:33], v[128:129], s[34:35], v[32:33] op_sel:[0,0,1] op_sel_hi:[1,0,0] neg_lo:[0,0,1] neg_hi:[0,0,1]
	v_pk_add_f32 v[34:35], v[36:37], v[34:35]
	v_mov_b32_e32 v36, v30
	v_mov_b32_e32 v37, v33
	v_pk_add_f32 v[34:35], v[36:37], v[34:35]
	v_pk_mul_f32 v[36:37], v[102:103], s[30:31] op_sel_hi:[1,0]
	ds_write2_b64 v218, v[44:45], v[34:35] offset1:119
	v_pk_fma_f32 v[34:35], v[94:95], s[0:1], v[36:37] op_sel:[0,0,1] op_sel_hi:[1,0,0]
	v_pk_fma_f32 v[36:37], v[94:95], s[0:1], v[36:37] op_sel:[0,0,1] op_sel_hi:[1,0,0] neg_lo:[0,0,1] neg_hi:[0,0,1]
	v_mov_b32_e32 v38, v34
	v_mov_b32_e32 v39, v37
	v_pk_mul_f32 v[40:41], v[106:107], s[28:29] op_sel_hi:[1,0]
	v_pk_add_f32 v[42:43], v[0:1], v[38:39]
	v_pk_fma_f32 v[38:39], v[104:105], s[8:9], v[40:41] op_sel:[0,0,1] op_sel_hi:[1,0,0]
	v_pk_fma_f32 v[40:41], v[104:105], s[8:9], v[40:41] op_sel:[0,0,1] op_sel_hi:[1,0,0] neg_lo:[0,0,1] neg_hi:[0,0,1]
	v_mov_b32_e32 v44, v38
	v_mov_b32_e32 v45, v41
	v_pk_add_f32 v[46:47], v[44:45], v[42:43]
	v_pk_mul_f32 v[44:45], v[110:111], s[22:23] op_sel_hi:[1,0]
	s_mov_b32 s48, 0x3f06c442
	v_pk_fma_f32 v[42:43], v[108:109], s[20:21], v[44:45] op_sel:[0,0,1] op_sel_hi:[1,0,0]
	v_pk_fma_f32 v[44:45], v[108:109], s[20:21], v[44:45] op_sel:[0,0,1] op_sel_hi:[1,0,0] neg_lo:[0,0,1] neg_hi:[0,0,1]
	v_mov_b32_e32 v48, v42
	v_mov_b32_e32 v49, v45
	v_pk_add_f32 v[50:51], v[48:49], v[46:47]
	v_pk_mul_f32 v[48:49], v[114:115], s[36:37] op_sel_hi:[1,0]
	s_mov_b32 s46, 0x3f763a35
	;; [unrolled: 7-line block ×4, first 2 shown]
	v_pk_fma_f32 v[54:55], v[120:121], s[14:15], v[56:57] op_sel:[0,0,1] op_sel_hi:[1,0,0]
	v_pk_fma_f32 v[56:57], v[120:121], s[14:15], v[56:57] op_sel:[0,0,1] op_sel_hi:[1,0,0] neg_lo:[0,0,1] neg_hi:[0,0,1]
	v_mov_b32_e32 v60, v54
	v_mov_b32_e32 v61, v57
	v_pk_add_f32 v[62:63], v[60:61], v[58:59]
	v_pk_mul_f32 v[60:61], v[126:127], s[38:39] op_sel_hi:[1,0]
	v_pk_mul_f32 v[72:73], v[106:107], s[22:23] op_sel_hi:[1,0]
	v_pk_fma_f32 v[58:59], v[124:125], s[2:3], v[60:61] op_sel:[0,0,1] op_sel_hi:[1,0,0]
	v_pk_fma_f32 v[60:61], v[124:125], s[2:3], v[60:61] op_sel:[0,0,1] op_sel_hi:[1,0,0] neg_lo:[0,0,1] neg_hi:[0,0,1]
	v_mov_b32_e32 v64, v58
	v_mov_b32_e32 v65, v61
	v_pk_add_f32 v[66:67], v[64:65], v[62:63]
	v_pk_mul_f32 v[64:65], v[130:131], s[40:41] op_sel_hi:[1,0]
	s_mov_b32 s44, 0x3e3c28d5
	v_pk_fma_f32 v[62:63], v[128:129], s[10:11], v[64:65] op_sel:[0,0,1] op_sel_hi:[1,0,0]
	v_pk_fma_f32 v[64:65], v[128:129], s[10:11], v[64:65] op_sel:[0,0,1] op_sel_hi:[1,0,0] neg_lo:[0,0,1] neg_hi:[0,0,1]
	v_mov_b32_e32 v68, v62
	v_mov_b32_e32 v69, v65
	v_pk_add_f32 v[132:133], v[68:69], v[66:67]
	v_pk_mul_f32 v[68:69], v[102:103], s[42:43] op_sel_hi:[1,0]
	v_pk_mul_f32 v[138:139], v[106:107], s[36:37] op_sel_hi:[1,0]
	v_pk_fma_f32 v[66:67], v[94:95], s[2:3], v[68:69] op_sel:[0,0,1] op_sel_hi:[1,0,0]
	v_pk_fma_f32 v[68:69], v[94:95], s[2:3], v[68:69] op_sel:[0,0,1] op_sel_hi:[1,0,0] neg_lo:[0,0,1] neg_hi:[0,0,1]
	v_mov_b32_e32 v70, v66
	v_mov_b32_e32 v71, v69
	v_pk_add_f32 v[74:75], v[0:1], v[70:71]
	v_pk_fma_f32 v[70:71], v[104:105], s[20:21], v[72:73] op_sel:[0,0,1] op_sel_hi:[1,0,0]
	v_pk_fma_f32 v[72:73], v[104:105], s[20:21], v[72:73] op_sel:[0,0,1] op_sel_hi:[1,0,0] neg_lo:[0,0,1] neg_hi:[0,0,1]
	v_mov_b32_e32 v76, v70
	v_mov_b32_e32 v77, v73
	v_pk_add_f32 v[78:79], v[76:77], v[74:75]
	v_pk_mul_f32 v[76:77], v[110:111], s[44:45] op_sel_hi:[1,0]
	s_mov_b32 s44, 0x3f2c7751
	v_pk_fma_f32 v[74:75], v[108:109], s[34:35], v[76:77] op_sel:[0,0,1] op_sel_hi:[1,0,0]
	v_pk_fma_f32 v[76:77], v[108:109], s[34:35], v[76:77] op_sel:[0,0,1] op_sel_hi:[1,0,0] neg_lo:[0,0,1] neg_hi:[0,0,1]
	v_mov_b32_e32 v80, v74
	v_mov_b32_e32 v81, v77
	v_pk_add_f32 v[82:83], v[80:81], v[78:79]
	v_pk_mul_f32 v[80:81], v[114:115], s[46:47] op_sel_hi:[1,0]
	s_mov_b32 s50, 0x3f4c4adb
	v_pk_fma_f32 v[78:79], v[112:113], s[14:15], v[80:81] op_sel:[0,0,1] op_sel_hi:[1,0,0]
	v_pk_fma_f32 v[80:81], v[112:113], s[14:15], v[80:81] op_sel:[0,0,1] op_sel_hi:[1,0,0] neg_lo:[0,0,1] neg_hi:[0,0,1]
	v_mov_b32_e32 v84, v78
	v_mov_b32_e32 v85, v81
	v_pk_add_f32 v[86:87], v[84:85], v[82:83]
	v_pk_mul_f32 v[84:85], v[118:119], s[44:45] op_sel_hi:[1,0]
	v_pk_mul_f32 v[170:171], v[106:107], s[48:49] op_sel_hi:[1,0]
	v_pk_fma_f32 v[82:83], v[116:117], s[0:1], v[84:85] op_sel:[0,0,1] op_sel_hi:[1,0,0]
	v_pk_fma_f32 v[84:85], v[116:117], s[0:1], v[84:85] op_sel:[0,0,1] op_sel_hi:[1,0,0] neg_lo:[0,0,1] neg_hi:[0,0,1]
	v_mov_b32_e32 v88, v82
	v_mov_b32_e32 v89, v85
	v_pk_add_f32 v[90:91], v[88:89], v[86:87]
	v_pk_mul_f32 v[88:89], v[122:123], s[18:19] op_sel_hi:[1,0]
	v_pk_mul_f32 v[208:209], v[106:107], s[46:47] op_sel_hi:[1,0]
	v_pk_fma_f32 v[86:87], v[120:121], s[10:11], v[88:89] op_sel:[0,0,1] op_sel_hi:[1,0,0]
	v_pk_fma_f32 v[88:89], v[120:121], s[10:11], v[88:89] op_sel:[0,0,1] op_sel_hi:[1,0,0] neg_lo:[0,0,1] neg_hi:[0,0,1]
	v_mov_b32_e32 v92, v86
	v_mov_b32_e32 v93, v89
	v_pk_add_f32 v[98:99], v[92:93], v[90:91]
	v_pk_mul_f32 v[92:93], v[126:127], s[28:29] op_sel_hi:[1,0]
	v_pk_fma_f32 v[210:211], v[104:105], s[14:15], v[208:209] op_sel:[0,0,1] op_sel_hi:[1,0,0]
	v_pk_fma_f32 v[90:91], v[124:125], s[8:9], v[92:93] op_sel:[0,0,1] op_sel_hi:[1,0,0]
	v_pk_fma_f32 v[92:93], v[124:125], s[8:9], v[92:93] op_sel:[0,0,1] op_sel_hi:[1,0,0] neg_lo:[0,0,1] neg_hi:[0,0,1]
	v_mov_b32_e32 v100, v90
	v_mov_b32_e32 v101, v93
	v_pk_add_f32 v[134:135], v[100:101], v[98:99]
	v_pk_mul_f32 v[100:101], v[130:131], s[26:27] op_sel_hi:[1,0]
	v_pk_fma_f32 v[208:209], v[104:105], s[14:15], v[208:209] op_sel:[0,0,1] op_sel_hi:[1,0,0] neg_lo:[0,0,1] neg_hi:[0,0,1]
	v_pk_fma_f32 v[98:99], v[128:129], s[24:25], v[100:101] op_sel:[0,0,1] op_sel_hi:[1,0,0]
	v_pk_fma_f32 v[100:101], v[128:129], s[24:25], v[100:101] op_sel:[0,0,1] op_sel_hi:[1,0,0] neg_lo:[0,0,1] neg_hi:[0,0,1]
	v_mov_b32_e32 v136, v98
	v_mov_b32_e32 v137, v101
	v_pk_add_f32 v[134:135], v[136:137], v[134:135]
	ds_write2_b64 v219, v[132:133], v[134:135] offset0:110 offset1:229
	v_pk_mul_f32 v[134:135], v[102:103], s[28:29] op_sel_hi:[1,0]
	v_mov_b32_e32 v212, v210
	v_pk_fma_f32 v[132:133], v[94:95], s[8:9], v[134:135] op_sel:[0,0,1] op_sel_hi:[1,0,0]
	v_pk_fma_f32 v[134:135], v[94:95], s[8:9], v[134:135] op_sel:[0,0,1] op_sel_hi:[1,0,0] neg_lo:[0,0,1] neg_hi:[0,0,1]
	v_mov_b32_e32 v136, v132
	v_mov_b32_e32 v137, v135
	v_pk_add_f32 v[140:141], v[0:1], v[136:137]
	v_pk_fma_f32 v[136:137], v[104:105], s[34:35], v[138:139] op_sel:[0,0,1] op_sel_hi:[1,0,0]
	v_pk_fma_f32 v[138:139], v[104:105], s[34:35], v[138:139] op_sel:[0,0,1] op_sel_hi:[1,0,0] neg_lo:[0,0,1] neg_hi:[0,0,1]
	v_mov_b32_e32 v142, v136
	v_mov_b32_e32 v143, v139
	v_pk_add_f32 v[144:145], v[142:143], v[140:141]
	v_pk_mul_f32 v[142:143], v[110:111], s[46:47] op_sel_hi:[1,0]
	v_mov_b32_e32 v213, v209
	v_pk_fma_f32 v[140:141], v[108:109], s[14:15], v[142:143] op_sel:[0,0,1] op_sel_hi:[1,0,0]
	v_pk_fma_f32 v[142:143], v[108:109], s[14:15], v[142:143] op_sel:[0,0,1] op_sel_hi:[1,0,0] neg_lo:[0,0,1] neg_hi:[0,0,1]
	v_mov_b32_e32 v146, v140
	v_mov_b32_e32 v147, v143
	v_pk_add_f32 v[148:149], v[146:147], v[144:145]
	v_pk_mul_f32 v[146:147], v[114:115], s[40:41] op_sel_hi:[1,0]
	v_pk_mul_f32 v[244:245], v[106:107], s[38:39] op_sel_hi:[1,0]
	v_pk_fma_f32 v[144:145], v[112:113], s[10:11], v[146:147] op_sel:[0,0,1] op_sel_hi:[1,0,0]
	v_pk_fma_f32 v[146:147], v[112:113], s[10:11], v[146:147] op_sel:[0,0,1] op_sel_hi:[1,0,0] neg_lo:[0,0,1] neg_hi:[0,0,1]
	v_mov_b32_e32 v150, v144
	v_mov_b32_e32 v151, v147
	v_pk_add_f32 v[152:153], v[150:151], v[148:149]
	v_pk_mul_f32 v[150:151], v[118:119], s[42:43] op_sel_hi:[1,0]
	v_pk_fma_f32 v[246:247], v[104:105], s[2:3], v[244:245] op_sel:[0,0,1] op_sel_hi:[1,0,0]
	v_pk_fma_f32 v[148:149], v[116:117], s[2:3], v[150:151] op_sel:[0,0,1] op_sel_hi:[1,0,0]
	v_pk_fma_f32 v[150:151], v[116:117], s[2:3], v[150:151] op_sel:[0,0,1] op_sel_hi:[1,0,0] neg_lo:[0,0,1] neg_hi:[0,0,1]
	v_mov_b32_e32 v154, v148
	v_mov_b32_e32 v155, v151
	v_pk_add_f32 v[156:157], v[154:155], v[152:153]
	v_pk_mul_f32 v[154:155], v[122:123], s[26:27] op_sel_hi:[1,0]
	v_pk_fma_f32 v[244:245], v[104:105], s[2:3], v[244:245] op_sel:[0,0,1] op_sel_hi:[1,0,0] neg_lo:[0,0,1] neg_hi:[0,0,1]
	v_pk_fma_f32 v[152:153], v[120:121], s[24:25], v[154:155] op_sel:[0,0,1] op_sel_hi:[1,0,0]
	v_pk_fma_f32 v[154:155], v[120:121], s[24:25], v[154:155] op_sel:[0,0,1] op_sel_hi:[1,0,0] neg_lo:[0,0,1] neg_hi:[0,0,1]
	v_mov_b32_e32 v158, v152
	v_mov_b32_e32 v159, v155
	v_pk_add_f32 v[160:161], v[158:159], v[156:157]
	v_pk_mul_f32 v[158:159], v[126:127], s[50:51] op_sel_hi:[1,0]
	v_mov_b32_e32 v248, v246
	v_pk_fma_f32 v[156:157], v[124:125], s[20:21], v[158:159] op_sel:[0,0,1] op_sel_hi:[1,0,0]
	v_pk_fma_f32 v[158:159], v[124:125], s[20:21], v[158:159] op_sel:[0,0,1] op_sel_hi:[1,0,0] neg_lo:[0,0,1] neg_hi:[0,0,1]
	v_mov_b32_e32 v162, v156
	v_mov_b32_e32 v163, v159
	v_pk_add_f32 v[164:165], v[162:163], v[160:161]
	v_pk_mul_f32 v[162:163], v[130:131], s[44:45] op_sel_hi:[1,0]
	v_mov_b32_e32 v249, v245
	;; [unrolled: 7-line block ×3, first 2 shown]
	v_pk_fma_f32 v[164:165], v[94:95], s[14:15], v[166:167] op_sel:[0,0,1] op_sel_hi:[1,0,0]
	v_pk_fma_f32 v[166:167], v[94:95], s[14:15], v[166:167] op_sel:[0,0,1] op_sel_hi:[1,0,0] neg_lo:[0,0,1] neg_hi:[0,0,1]
	v_mov_b32_e32 v168, v164
	v_mov_b32_e32 v169, v167
	v_pk_add_f32 v[172:173], v[0:1], v[168:169]
	v_pk_fma_f32 v[168:169], v[104:105], s[24:25], v[170:171] op_sel:[0,0,1] op_sel_hi:[1,0,0]
	v_pk_fma_f32 v[170:171], v[104:105], s[24:25], v[170:171] op_sel:[0,0,1] op_sel_hi:[1,0,0] neg_lo:[0,0,1] neg_hi:[0,0,1]
	v_mov_b32_e32 v174, v168
	v_mov_b32_e32 v175, v171
	v_pk_add_f32 v[176:177], v[174:175], v[172:173]
	v_pk_mul_f32 v[174:175], v[110:111], s[44:45] op_sel_hi:[1,0]
	v_mov_b32_e32 v245, v247
	v_pk_fma_f32 v[172:173], v[108:109], s[0:1], v[174:175] op_sel:[0,0,1] op_sel_hi:[1,0,0]
	v_pk_fma_f32 v[174:175], v[108:109], s[0:1], v[174:175] op_sel:[0,0,1] op_sel_hi:[1,0,0] neg_lo:[0,0,1] neg_hi:[0,0,1]
	v_mov_b32_e32 v178, v172
	v_mov_b32_e32 v179, v175
	v_pk_add_f32 v[180:181], v[178:179], v[176:177]
	v_pk_mul_f32 v[178:179], v[114:115], s[42:43] op_sel_hi:[1,0]
	s_mov_b32 s42, 0x3f7ee86f
	v_pk_fma_f32 v[176:177], v[112:113], s[2:3], v[178:179] op_sel:[0,0,1] op_sel_hi:[1,0,0]
	v_pk_fma_f32 v[178:179], v[112:113], s[2:3], v[178:179] op_sel:[0,0,1] op_sel_hi:[1,0,0] neg_lo:[0,0,1] neg_hi:[0,0,1]
	v_mov_b32_e32 v182, v176
	v_mov_b32_e32 v183, v179
	v_pk_add_f32 v[184:185], v[182:183], v[180:181]
	v_pk_mul_f32 v[182:183], v[118:119], s[36:37] op_sel_hi:[1,0]
	v_mov_b32_e32 v209, v211
	v_pk_fma_f32 v[180:181], v[116:117], s[34:35], v[182:183] op_sel:[0,0,1] op_sel_hi:[1,0,0]
	v_pk_fma_f32 v[182:183], v[116:117], s[34:35], v[182:183] op_sel:[0,0,1] op_sel_hi:[1,0,0] neg_lo:[0,0,1] neg_hi:[0,0,1]
	v_mov_b32_e32 v186, v180
	v_mov_b32_e32 v187, v183
	v_pk_add_f32 v[188:189], v[186:187], v[184:185]
	v_pk_mul_f32 v[186:187], v[122:123], s[42:43] op_sel_hi:[1,0]
	v_mov_b32_e32 v167, v165
	v_pk_fma_f32 v[184:185], v[120:121], s[8:9], v[186:187] op_sel:[0,0,1] op_sel_hi:[1,0,0]
	v_pk_fma_f32 v[186:187], v[120:121], s[8:9], v[186:187] op_sel:[0,0,1] op_sel_hi:[1,0,0] neg_lo:[0,0,1] neg_hi:[0,0,1]
	v_mov_b32_e32 v190, v184
	v_mov_b32_e32 v191, v187
	v_pk_add_f32 v[200:201], v[190:191], v[188:189]
	v_pk_mul_f32 v[190:191], v[126:127], s[18:19] op_sel_hi:[1,0]
	v_mov_b32_e32 v135, v133
	v_pk_fma_f32 v[188:189], v[124:125], s[10:11], v[190:191] op_sel:[0,0,1] op_sel_hi:[1,0,0]
	v_pk_fma_f32 v[190:191], v[124:125], s[10:11], v[190:191] op_sel:[0,0,1] op_sel_hi:[1,0,0] neg_lo:[0,0,1] neg_hi:[0,0,1]
	v_mov_b32_e32 v202, v188
	v_mov_b32_e32 v203, v191
	v_pk_add_f32 v[200:201], v[202:203], v[200:201]
	v_pk_mul_f32 v[202:203], v[130:131], s[22:23] op_sel_hi:[1,0]
	v_mov_b32_e32 v171, v169
	v_pk_fma_f32 v[18:19], v[128:129], s[20:21], v[202:203] op_sel:[0,0,1] op_sel_hi:[1,0,0]
	v_pk_fma_f32 v[202:203], v[128:129], s[20:21], v[202:203] op_sel:[0,0,1] op_sel_hi:[1,0,0] neg_lo:[0,0,1] neg_hi:[0,0,1]
	v_mov_b32_e32 v206, v18
	v_mov_b32_e32 v207, v203
	v_pk_add_f32 v[200:201], v[206:207], v[200:201]
	ds_write2_b64 v96, v[198:199], v[200:201] offset0:92 offset1:211
	v_pk_mul_f32 v[198:199], v[102:103], s[22:23] op_sel_hi:[1,0]
	v_accvgpr_read_b32 v18, a40
	v_pk_fma_f32 v[200:201], v[94:95], s[20:21], v[198:199] op_sel:[0,0,1] op_sel_hi:[1,0,0]
	v_pk_fma_f32 v[198:199], v[94:95], s[20:21], v[198:199] op_sel:[0,0,1] op_sel_hi:[1,0,0] neg_lo:[0,0,1] neg_hi:[0,0,1]
	v_mov_b32_e32 v206, v200
	v_mov_b32_e32 v207, v199
	v_pk_add_f32 v[206:207], v[0:1], v[206:207]
	v_mov_b32_e32 v199, v201
	v_pk_add_f32 v[206:207], v[212:213], v[206:207]
	v_pk_mul_f32 v[212:213], v[110:111], s[18:19] op_sel_hi:[1,0]
	v_mov_b32_e32 v139, v137
	v_pk_fma_f32 v[214:215], v[108:109], s[10:11], v[212:213] op_sel:[0,0,1] op_sel_hi:[1,0,0]
	v_pk_fma_f32 v[212:213], v[108:109], s[10:11], v[212:213] op_sel:[0,0,1] op_sel_hi:[1,0,0] neg_lo:[0,0,1] neg_hi:[0,0,1]
	v_mov_b32_e32 v216, v214
	v_mov_b32_e32 v217, v213
	v_pk_add_f32 v[206:207], v[216:217], v[206:207]
	v_pk_mul_f32 v[216:217], v[114:115], s[26:27] op_sel_hi:[1,0]
	v_mov_b32_e32 v213, v215
	v_pk_fma_f32 v[220:221], v[112:113], s[24:25], v[216:217] op_sel:[0,0,1] op_sel_hi:[1,0,0]
	v_pk_fma_f32 v[216:217], v[112:113], s[24:25], v[216:217] op_sel:[0,0,1] op_sel_hi:[1,0,0] neg_lo:[0,0,1] neg_hi:[0,0,1]
	v_mov_b32_e32 v222, v220
	;; [unrolled: 7-line block ×7, first 2 shown]
	v_mov_b32_e32 v243, v239
	v_pk_add_f32 v[242:243], v[0:1], v[242:243]
	v_mov_b32_e32 v239, v241
	v_pk_add_f32 v[242:243], v[248:249], v[242:243]
	v_pk_mul_f32 v[248:249], v[110:111], s[28:29] op_sel_hi:[1,0]
	v_mov_b32_e32 v175, v173
	v_pk_fma_f32 v[250:251], v[108:109], s[8:9], v[248:249] op_sel:[0,0,1] op_sel_hi:[1,0,0]
	v_pk_fma_f32 v[248:249], v[108:109], s[8:9], v[248:249] op_sel:[0,0,1] op_sel_hi:[1,0,0] neg_lo:[0,0,1] neg_hi:[0,0,1]
	v_mov_b32_e32 v252, v250
	v_mov_b32_e32 v253, v249
	v_pk_add_f32 v[242:243], v[252:253], v[242:243]
	v_pk_mul_f32 v[252:253], v[114:115], s[50:51] op_sel_hi:[1,0]
	v_mov_b32_e32 v249, v251
	v_pk_fma_f32 v[96:97], v[112:113], s[20:21], v[252:253] op_sel:[0,0,1] op_sel_hi:[1,0,0]
	v_pk_fma_f32 v[252:253], v[112:113], s[20:21], v[252:253] op_sel:[0,0,1] op_sel_hi:[1,0,0] neg_lo:[0,0,1] neg_hi:[0,0,1]
	v_mov_b32_e32 v254, v96
	;; [unrolled: 7-line block ×3, first 2 shown]
	v_mov_b32_e32 v3, v255
	v_pk_add_f32 v[2:3], v[2:3], v[242:243]
	v_pk_mul_f32 v[242:243], v[122:123], s[36:37] op_sel_hi:[1,0]
	v_accvgpr_read_b32 v16, a39
	v_pk_fma_f32 v[14:15], v[120:121], s[34:35], v[242:243] op_sel:[0,0,1] op_sel_hi:[1,0,0]
	v_pk_fma_f32 v[242:243], v[120:121], s[34:35], v[242:243] op_sel:[0,0,1] op_sel_hi:[1,0,0] neg_lo:[0,0,1] neg_hi:[0,0,1]
	v_mov_b32_e32 v4, v14
	v_mov_b32_e32 v5, v243
	v_pk_add_f32 v[2:3], v[4:5], v[2:3]
	v_pk_mul_f32 v[4:5], v[126:127], s[44:45] op_sel_hi:[1,0]
	v_mov_b32_e32 v255, v17
	v_pk_fma_f32 v[12:13], v[124:125], s[0:1], v[4:5] op_sel:[0,0,1] op_sel_hi:[1,0,0]
	v_pk_fma_f32 v[4:5], v[124:125], s[0:1], v[4:5] op_sel:[0,0,1] op_sel_hi:[1,0,0] neg_lo:[0,0,1] neg_hi:[0,0,1]
	v_mov_b32_e32 v6, v12
	v_mov_b32_e32 v7, v5
	v_pk_add_f32 v[2:3], v[6:7], v[2:3]
	v_pk_mul_f32 v[6:7], v[130:131], s[16:17] op_sel_hi:[1,0]
	v_mov_b32_e32 v243, v15
	v_pk_fma_f32 v[10:11], v[128:129], s[14:15], v[6:7] op_sel:[0,0,1] op_sel_hi:[1,0,0]
	v_pk_fma_f32 v[6:7], v[128:129], s[14:15], v[6:7] op_sel:[0,0,1] op_sel_hi:[1,0,0] neg_lo:[0,0,1] neg_hi:[0,0,1]
	v_mov_b32_e32 v8, v10
	v_mov_b32_e32 v9, v7
	v_pk_add_f32 v[2:3], v[8:9], v[2:3]
	ds_write2_b64 v18, v[206:207], v[2:3] offset0:74 offset1:193
	v_pk_mul_f32 v[2:3], v[102:103], s[36:37] op_sel_hi:[1,0]
	v_mov_b32_e32 v5, v13
	v_pk_fma_f32 v[8:9], v[94:95], s[34:35], v[2:3] op_sel:[0,0,1] op_sel_hi:[1,0,0]
	v_pk_fma_f32 v[2:3], v[94:95], s[34:35], v[2:3] op_sel:[0,0,1] op_sel_hi:[1,0,0] neg_lo:[0,0,1] neg_hi:[0,0,1]
	v_pk_mul_f32 v[94:95], v[106:107], s[40:41] op_sel_hi:[1,0]
	v_mov_b32_e32 v7, v11
	v_pk_fma_f32 v[102:103], v[104:105], s[10:11], v[94:95] op_sel:[0,0,1] op_sel_hi:[1,0,0]
	v_pk_fma_f32 v[94:95], v[104:105], s[10:11], v[94:95] op_sel:[0,0,1] op_sel_hi:[1,0,0] neg_lo:[0,0,1] neg_hi:[0,0,1]
	v_mov_b32_e32 v104, v8
	v_mov_b32_e32 v105, v3
	v_pk_add_f32 v[104:105], v[0:1], v[104:105]
	v_mov_b32_e32 v106, v102
	v_mov_b32_e32 v107, v95
	v_pk_add_f32 v[104:105], v[106:107], v[104:105]
	v_pk_mul_f32 v[106:107], v[110:111], s[26:27] op_sel_hi:[1,0]
	v_mov_b32_e32 v3, v9
	v_pk_fma_f32 v[110:111], v[108:109], s[24:25], v[106:107] op_sel:[0,0,1] op_sel_hi:[1,0,0]
	v_pk_fma_f32 v[106:107], v[108:109], s[24:25], v[106:107] op_sel:[0,0,1] op_sel_hi:[1,0,0] neg_lo:[0,0,1] neg_hi:[0,0,1]
	v_mov_b32_e32 v108, v110
	v_mov_b32_e32 v109, v107
	v_pk_add_f32 v[104:105], v[108:109], v[104:105]
	v_pk_mul_f32 v[108:109], v[114:115], s[44:45] op_sel_hi:[1,0]
	v_mov_b32_e32 v95, v103
	v_pk_fma_f32 v[114:115], v[112:113], s[0:1], v[108:109] op_sel:[0,0,1] op_sel_hi:[1,0,0]
	v_pk_fma_f32 v[108:109], v[112:113], s[0:1], v[108:109] op_sel:[0,0,1] op_sel_hi:[1,0,0] neg_lo:[0,0,1] neg_hi:[0,0,1]
	v_mov_b32_e32 v112, v114
	v_mov_b32_e32 v113, v109
	v_pk_add_f32 v[104:105], v[112:113], v[104:105]
	v_pk_mul_f32 v[112:113], v[118:119], s[22:23] op_sel_hi:[1,0]
	v_pk_add_f32 v[2:3], v[0:1], v[2:3]
	v_pk_fma_f32 v[118:119], v[116:117], s[20:21], v[112:113] op_sel:[0,0,1] op_sel_hi:[1,0,0]
	v_pk_fma_f32 v[112:113], v[116:117], s[20:21], v[112:113] op_sel:[0,0,1] op_sel_hi:[1,0,0] neg_lo:[0,0,1] neg_hi:[0,0,1]
	v_mov_b32_e32 v116, v118
	v_mov_b32_e32 v117, v113
	v_pk_add_f32 v[104:105], v[116:117], v[104:105]
	v_pk_mul_f32 v[116:117], v[122:123], s[38:39] op_sel_hi:[1,0]
	v_pk_add_f32 v[2:3], v[94:95], v[2:3]
	v_pk_fma_f32 v[122:123], v[120:121], s[2:3], v[116:117] op_sel:[0,0,1] op_sel_hi:[1,0,0]
	v_pk_fma_f32 v[116:117], v[120:121], s[2:3], v[116:117] op_sel:[0,0,1] op_sel_hi:[1,0,0] neg_lo:[0,0,1] neg_hi:[0,0,1]
	v_mov_b32_e32 v120, v122
	v_mov_b32_e32 v121, v117
	v_pk_add_f32 v[104:105], v[120:121], v[104:105]
	v_pk_mul_f32 v[120:121], v[126:127], s[16:17] op_sel_hi:[1,0]
	v_mov_b32_e32 v107, v111
	v_pk_fma_f32 v[126:127], v[124:125], s[14:15], v[120:121] op_sel:[0,0,1] op_sel_hi:[1,0,0]
	v_pk_fma_f32 v[120:121], v[124:125], s[14:15], v[120:121] op_sel:[0,0,1] op_sel_hi:[1,0,0] neg_lo:[0,0,1] neg_hi:[0,0,1]
	v_pk_add_f32 v[2:3], v[106:107], v[2:3]
	v_mov_b32_e32 v109, v115
	v_mov_b32_e32 v124, v126
	;; [unrolled: 1-line block ×3, first 2 shown]
	v_pk_add_f32 v[2:3], v[108:109], v[2:3]
	v_mov_b32_e32 v113, v119
	v_pk_add_f32 v[104:105], v[124:125], v[104:105]
	v_pk_mul_f32 v[124:125], v[130:131], s[42:43] op_sel_hi:[1,0]
	v_pk_add_f32 v[2:3], v[112:113], v[2:3]
	v_mov_b32_e32 v117, v123
	v_pk_fma_f32 v[130:131], v[128:129], s[8:9], v[124:125] op_sel:[0,0,1] op_sel_hi:[1,0,0]
	v_pk_fma_f32 v[124:125], v[128:129], s[8:9], v[124:125] op_sel:[0,0,1] op_sel_hi:[1,0,0] neg_lo:[0,0,1] neg_hi:[0,0,1]
	v_pk_add_f32 v[2:3], v[116:117], v[2:3]
	v_mov_b32_e32 v121, v127
	v_mov_b32_e32 v128, v130
	;; [unrolled: 1-line block ×3, first 2 shown]
	v_pk_add_f32 v[2:3], v[120:121], v[2:3]
	v_mov_b32_e32 v125, v131
	v_pk_add_f32 v[104:105], v[128:129], v[104:105]
	v_pk_add_f32 v[2:3], v[124:125], v[2:3]
	ds_write2_b64 v16, v[104:105], v[2:3] offset0:56 offset1:175
	v_pk_add_f32 v[2:3], v[0:1], v[238:239]
	v_accvgpr_read_b32 v15, a38
	v_pk_add_f32 v[2:3], v[244:245], v[2:3]
	v_mov_b32_e32 v143, v141
	v_pk_add_f32 v[2:3], v[248:249], v[2:3]
	v_mov_b32_e32 v179, v177
	;; [unrolled: 2-line block ×6, first 2 shown]
	v_pk_add_f32 v[2:3], v[6:7], v[2:3]
	v_pk_add_f32 v[6:7], v[0:1], v[198:199]
	v_mov_b32_e32 v155, v153
	v_pk_add_f32 v[6:7], v[208:209], v[6:7]
	v_mov_b32_e32 v191, v189
	;; [unrolled: 2-line block ×5, first 2 shown]
	v_pk_add_f32 v[6:7], v[226:227], v[6:7]
	v_accvgpr_read_b32 v14, a3
	v_pk_add_f32 v[6:7], v[230:231], v[6:7]
	v_mov_b32_e32 v69, v67
	v_pk_add_f32 v[6:7], v[234:235], v[6:7]
	ds_write2_b64 v15, v[2:3], v[6:7] offset0:38 offset1:157
	v_pk_add_f32 v[2:3], v[0:1], v[166:167]
	v_pk_add_f32 v[6:7], v[0:1], v[134:135]
	;; [unrolled: 1-line block ×16, first 2 shown]
	v_mov_b32_e32 v37, v35
	v_accvgpr_read_b32 v205, a41
	ds_write2_b64 v14, v[2:3], v[6:7] offset0:20 offset1:139
	v_pk_add_f32 v[2:3], v[0:1], v[68:69]
	v_mov_b32_e32 v73, v71
	v_pk_add_f32 v[6:7], v[0:1], v[36:37]
	v_mov_b32_e32 v41, v39
	v_pk_add_f32 v[0:1], v[0:1], v[204:205]
	v_accvgpr_read_b32 v197, a43
	v_pk_add_f32 v[2:3], v[72:73], v[2:3]
	v_mov_b32_e32 v77, v75
	v_pk_add_f32 v[6:7], v[40:41], v[6:7]
	v_mov_b32_e32 v45, v43
	v_pk_add_f32 v[0:1], v[196:197], v[0:1]
	v_accvgpr_read_b32 v195, a45
	;; [unrolled: 6-line block ×4, first 2 shown]
	v_pk_add_f32 v[2:3], v[84:85], v[2:3]
	v_mov_b32_e32 v89, v87
	v_pk_add_f32 v[6:7], v[52:53], v[6:7]
	v_mov_b32_e32 v57, v55
	;; [unrolled: 2-line block ×9, first 2 shown]
	v_pk_add_f32 v[2:3], v[100:101], v[2:3]
	v_pk_add_f32 v[6:7], v[64:65], v[6:7]
	v_accvgpr_read_b32 v13, a1
	v_pk_add_f32 v[0:1], v[32:33], v[0:1]
	v_accvgpr_read_b32 v10, a0
	ds_write2_b64 v13, v[2:3], v[6:7] offset0:130 offset1:249
	ds_write_b64 v218, v[0:1] offset:15232
	s_waitcnt lgkmcnt(0)
	s_barrier
	ds_read2_b64 v[0:3], v218 offset1:119
	v_mad_u64_u32 v[8:9], s[0:1], s6, v10, 0
	v_mov_b32_e32 v6, v9
	v_mad_u64_u32 v[6:7], s[0:1], s7, v10, v[6:7]
	v_accvgpr_read_b32 v10, a34
	v_accvgpr_read_b32 v11, a35
	v_mov_b32_e32 v9, v6
	s_waitcnt lgkmcnt(0)
	v_mul_f32_e32 v6, v11, v1
	v_fmac_f32_e32 v6, v10, v0
	v_mul_f32_e32 v0, v11, v0
	s_mov_b32 s0, 0x2e50bc4c
	v_fma_f32 v0, v10, v1, -v0
	v_cvt_f64_f32_e32 v[6:7], v6
	s_mov_b32 s1, 0x3f40329e
	v_cvt_f64_f32_e32 v[0:1], v0
	v_mul_f64 v[6:7], v[6:7], s[0:1]
	v_mul_f64 v[0:1], v[0:1], s[0:1]
	v_accvgpr_read_b32 v12, a2
	v_cvt_f32_f64_e32 v6, v[6:7]
	v_cvt_f32_f64_e32 v7, v[0:1]
	v_mad_u64_u32 v[0:1], s[2:3], s4, v12, 0
	v_mov_b32_e32 v4, s12
	v_mov_b32_e32 v5, s13
	;; [unrolled: 1-line block ×3, first 2 shown]
	v_mad_u64_u32 v[10:11], s[2:3], s5, v12, v[10:11]
	v_lshl_add_u64 v[4:5], v[8:9], 3, v[4:5]
	v_accvgpr_read_b32 v8, a24
	v_mov_b32_e32 v1, v10
	v_accvgpr_read_b32 v9, a25
	v_lshl_add_u64 v[4:5], v[0:1], 3, v[4:5]
	v_mul_f32_e32 v0, v9, v3
	v_fmac_f32_e32 v0, v8, v2
	v_cvt_f64_f32_e32 v[0:1], v0
	v_mul_f64 v[0:1], v[0:1], s[0:1]
	global_store_dwordx2 v[4:5], v[6:7], off
	v_cvt_f32_f64_e32 v6, v[0:1]
	v_mul_f32_e32 v0, v9, v2
	v_fma_f32 v0, v8, v3, -v0
	v_cvt_f64_f32_e32 v[0:1], v0
	v_mul_f64 v[0:1], v[0:1], s[0:1]
	v_cvt_f32_f64_e32 v7, v[0:1]
	ds_read2_b64 v[0:3], v219 offset0:110 offset1:229
	v_mov_b32_e32 v8, 0x3b8
	v_mad_u64_u32 v[4:5], s[2:3], s4, v8, v[4:5]
	s_mul_i32 s2, s5, 0x3b8
	s_nop 0
	v_add_u32_e32 v5, s2, v5
	v_accvgpr_read_b32 v11, a9
	global_store_dwordx2 v[4:5], v[6:7], off
	v_accvgpr_read_b32 v10, a8
	s_waitcnt lgkmcnt(0)
	v_mul_f32_e32 v6, v11, v1
	v_fmac_f32_e32 v6, v10, v0
	v_mul_f32_e32 v0, v11, v0
	v_fma_f32 v0, v10, v1, -v0
	v_cvt_f64_f32_e32 v[6:7], v6
	v_cvt_f64_f32_e32 v[0:1], v0
	v_mul_f64 v[6:7], v[6:7], s[0:1]
	v_mul_f64 v[0:1], v[0:1], s[0:1]
	v_accvgpr_read_b32 v11, a5
	v_cvt_f32_f64_e32 v6, v[6:7]
	v_cvt_f32_f64_e32 v7, v[0:1]
	v_accvgpr_read_b32 v10, a4
	v_mul_f32_e32 v0, v11, v3
	v_fmac_f32_e32 v0, v10, v2
	v_mad_u64_u32 v[4:5], s[6:7], s4, v8, v[4:5]
	v_cvt_f64_f32_e32 v[0:1], v0
	v_add_u32_e32 v5, s2, v5
	v_mul_f64 v[0:1], v[0:1], s[0:1]
	global_store_dwordx2 v[4:5], v[6:7], off
	v_cvt_f32_f64_e32 v6, v[0:1]
	v_mul_f32_e32 v0, v11, v2
	v_fma_f32 v0, v10, v3, -v0
	v_cvt_f64_f32_e32 v[0:1], v0
	v_mul_f64 v[0:1], v[0:1], s[0:1]
	v_cvt_f32_f64_e32 v7, v[0:1]
	ds_read2_b64 v[0:3], v22 offset0:92 offset1:211
	v_mad_u64_u32 v[4:5], s[6:7], s4, v8, v[4:5]
	v_add_u32_e32 v5, s2, v5
	v_accvgpr_read_b32 v11, a7
	global_store_dwordx2 v[4:5], v[6:7], off
	v_accvgpr_read_b32 v10, a6
	s_waitcnt lgkmcnt(0)
	v_mul_f32_e32 v6, v11, v1
	v_fmac_f32_e32 v6, v10, v0
	v_mul_f32_e32 v0, v11, v0
	v_fma_f32 v0, v10, v1, -v0
	v_cvt_f64_f32_e32 v[6:7], v6
	v_cvt_f64_f32_e32 v[0:1], v0
	v_accvgpr_read_b32 v10, a36
	v_mul_f64 v[6:7], v[6:7], s[0:1]
	v_mul_f64 v[0:1], v[0:1], s[0:1]
	v_accvgpr_read_b32 v11, a37
	v_cvt_f32_f64_e32 v6, v[6:7]
	v_cvt_f32_f64_e32 v7, v[0:1]
	v_mul_f32_e32 v0, v11, v3
	v_fmac_f32_e32 v0, v10, v2
	v_mad_u64_u32 v[4:5], s[6:7], s4, v8, v[4:5]
	v_cvt_f64_f32_e32 v[0:1], v0
	v_add_u32_e32 v5, s2, v5
	v_mul_f64 v[0:1], v[0:1], s[0:1]
	global_store_dwordx2 v[4:5], v[6:7], off
	v_cvt_f32_f64_e32 v6, v[0:1]
	v_mul_f32_e32 v0, v11, v2
	v_fma_f32 v0, v10, v3, -v0
	v_cvt_f64_f32_e32 v[0:1], v0
	v_mul_f64 v[0:1], v[0:1], s[0:1]
	v_cvt_f32_f64_e32 v7, v[0:1]
	ds_read2_b64 v[0:3], v18 offset0:74 offset1:193
	v_mad_u64_u32 v[4:5], s[6:7], s4, v8, v[4:5]
	v_accvgpr_read_b32 v10, a30
	v_add_u32_e32 v5, s2, v5
	v_accvgpr_read_b32 v11, a31
	global_store_dwordx2 v[4:5], v[6:7], off
	s_waitcnt lgkmcnt(0)
	v_mul_f32_e32 v6, v11, v1
	v_fmac_f32_e32 v6, v10, v0
	v_mul_f32_e32 v0, v11, v0
	v_fma_f32 v0, v10, v1, -v0
	v_cvt_f64_f32_e32 v[6:7], v6
	v_cvt_f64_f32_e32 v[0:1], v0
	v_accvgpr_read_b32 v10, a22
	v_mul_f64 v[6:7], v[6:7], s[0:1]
	v_mul_f64 v[0:1], v[0:1], s[0:1]
	v_accvgpr_read_b32 v11, a23
	v_cvt_f32_f64_e32 v6, v[6:7]
	v_cvt_f32_f64_e32 v7, v[0:1]
	v_mul_f32_e32 v0, v11, v3
	v_fmac_f32_e32 v0, v10, v2
	v_mad_u64_u32 v[4:5], s[6:7], s4, v8, v[4:5]
	v_cvt_f64_f32_e32 v[0:1], v0
	v_add_u32_e32 v5, s2, v5
	v_mul_f64 v[0:1], v[0:1], s[0:1]
	global_store_dwordx2 v[4:5], v[6:7], off
	v_cvt_f32_f64_e32 v6, v[0:1]
	v_mul_f32_e32 v0, v11, v2
	v_fma_f32 v0, v10, v3, -v0
	v_cvt_f64_f32_e32 v[0:1], v0
	v_mul_f64 v[0:1], v[0:1], s[0:1]
	v_cvt_f32_f64_e32 v7, v[0:1]
	ds_read2_b64 v[0:3], v16 offset0:56 offset1:175
	v_mad_u64_u32 v[4:5], s[6:7], s4, v8, v[4:5]
	v_accvgpr_read_b32 v10, a10
	v_add_u32_e32 v5, s2, v5
	v_accvgpr_read_b32 v11, a11
	global_store_dwordx2 v[4:5], v[6:7], off
	;; [unrolled: 32-line block ×5, first 2 shown]
	s_waitcnt lgkmcnt(0)
	v_mul_f32_e32 v6, v11, v1
	v_fmac_f32_e32 v6, v10, v0
	v_mul_f32_e32 v0, v11, v0
	v_fma_f32 v0, v10, v1, -v0
	v_cvt_f64_f32_e32 v[6:7], v6
	v_cvt_f64_f32_e32 v[0:1], v0
	v_mul_f64 v[6:7], v[6:7], s[0:1]
	v_mul_f64 v[0:1], v[0:1], s[0:1]
	v_cvt_f32_f64_e32 v6, v[6:7]
	v_cvt_f32_f64_e32 v7, v[0:1]
	v_mad_u64_u32 v[0:1], s[6:7], s4, v8, v[4:5]
	v_add_u32_e32 v1, s2, v1
	global_store_dwordx2 v[0:1], v[6:7], off
	v_accvgpr_read_b32 v6, a14
	v_accvgpr_read_b32 v7, a15
	v_mul_f32_e32 v4, v7, v3
	v_fmac_f32_e32 v4, v6, v2
	v_mul_f32_e32 v2, v7, v2
	v_fma_f32 v2, v6, v3, -v2
	v_cvt_f64_f32_e32 v[4:5], v4
	v_cvt_f64_f32_e32 v[2:3], v2
	v_mul_f64 v[4:5], v[4:5], s[0:1]
	v_mul_f64 v[2:3], v[2:3], s[0:1]
	v_cvt_f32_f64_e32 v4, v[4:5]
	v_cvt_f32_f64_e32 v5, v[2:3]
	ds_read_b64 v[2:3], v218 offset:15232
	v_mad_u64_u32 v[0:1], s[6:7], s4, v8, v[0:1]
	v_accvgpr_read_b32 v6, a18
	v_add_u32_e32 v1, s2, v1
	v_accvgpr_read_b32 v7, a19
	global_store_dwordx2 v[0:1], v[4:5], off
	s_waitcnt lgkmcnt(0)
	v_mul_f32_e32 v4, v7, v3
	v_fmac_f32_e32 v4, v6, v2
	v_mul_f32_e32 v2, v7, v2
	v_fma_f32 v2, v6, v3, -v2
	v_cvt_f64_f32_e32 v[4:5], v4
	v_cvt_f64_f32_e32 v[2:3], v2
	v_mul_f64 v[4:5], v[4:5], s[0:1]
	v_mul_f64 v[2:3], v[2:3], s[0:1]
	v_mad_u64_u32 v[0:1], s[0:1], s4, v8, v[0:1]
	v_cvt_f32_f64_e32 v4, v[4:5]
	v_cvt_f32_f64_e32 v5, v[2:3]
	v_add_u32_e32 v1, s2, v1
	global_store_dwordx2 v[0:1], v[4:5], off
.LBB0_12:
	s_endpgm
	.section	.rodata,"a",@progbits
	.p2align	6, 0x0
	.amdhsa_kernel bluestein_single_fwd_len2023_dim1_sp_op_CI_CI
		.amdhsa_group_segment_fixed_size 16184
		.amdhsa_private_segment_fixed_size 0
		.amdhsa_kernarg_size 104
		.amdhsa_user_sgpr_count 2
		.amdhsa_user_sgpr_dispatch_ptr 0
		.amdhsa_user_sgpr_queue_ptr 0
		.amdhsa_user_sgpr_kernarg_segment_ptr 1
		.amdhsa_user_sgpr_dispatch_id 0
		.amdhsa_user_sgpr_kernarg_preload_length 0
		.amdhsa_user_sgpr_kernarg_preload_offset 0
		.amdhsa_user_sgpr_private_segment_size 0
		.amdhsa_uses_dynamic_stack 0
		.amdhsa_enable_private_segment 0
		.amdhsa_system_sgpr_workgroup_id_x 1
		.amdhsa_system_sgpr_workgroup_id_y 0
		.amdhsa_system_sgpr_workgroup_id_z 0
		.amdhsa_system_sgpr_workgroup_info 0
		.amdhsa_system_vgpr_workitem_id 0
		.amdhsa_next_free_vgpr 404
		.amdhsa_next_free_sgpr 84
		.amdhsa_accum_offset 256
		.amdhsa_reserve_vcc 1
		.amdhsa_float_round_mode_32 0
		.amdhsa_float_round_mode_16_64 0
		.amdhsa_float_denorm_mode_32 3
		.amdhsa_float_denorm_mode_16_64 3
		.amdhsa_dx10_clamp 1
		.amdhsa_ieee_mode 1
		.amdhsa_fp16_overflow 0
		.amdhsa_tg_split 0
		.amdhsa_exception_fp_ieee_invalid_op 0
		.amdhsa_exception_fp_denorm_src 0
		.amdhsa_exception_fp_ieee_div_zero 0
		.amdhsa_exception_fp_ieee_overflow 0
		.amdhsa_exception_fp_ieee_underflow 0
		.amdhsa_exception_fp_ieee_inexact 0
		.amdhsa_exception_int_div_zero 0
	.end_amdhsa_kernel
	.text
.Lfunc_end0:
	.size	bluestein_single_fwd_len2023_dim1_sp_op_CI_CI, .Lfunc_end0-bluestein_single_fwd_len2023_dim1_sp_op_CI_CI
                                        ; -- End function
	.section	.AMDGPU.csdata,"",@progbits
; Kernel info:
; codeLenInByte = 29912
; NumSgprs: 90
; NumVgprs: 256
; NumAgprs: 148
; TotalNumVgprs: 404
; ScratchSize: 0
; MemoryBound: 0
; FloatMode: 240
; IeeeMode: 1
; LDSByteSize: 16184 bytes/workgroup (compile time only)
; SGPRBlocks: 11
; VGPRBlocks: 50
; NumSGPRsForWavesPerEU: 90
; NumVGPRsForWavesPerEU: 404
; AccumOffset: 256
; Occupancy: 1
; WaveLimiterHint : 1
; COMPUTE_PGM_RSRC2:SCRATCH_EN: 0
; COMPUTE_PGM_RSRC2:USER_SGPR: 2
; COMPUTE_PGM_RSRC2:TRAP_HANDLER: 0
; COMPUTE_PGM_RSRC2:TGID_X_EN: 1
; COMPUTE_PGM_RSRC2:TGID_Y_EN: 0
; COMPUTE_PGM_RSRC2:TGID_Z_EN: 0
; COMPUTE_PGM_RSRC2:TIDIG_COMP_CNT: 0
; COMPUTE_PGM_RSRC3_GFX90A:ACCUM_OFFSET: 63
; COMPUTE_PGM_RSRC3_GFX90A:TG_SPLIT: 0
	.text
	.p2alignl 6, 3212836864
	.fill 256, 4, 3212836864
	.type	__hip_cuid_bcfb0ecd5318568e,@object ; @__hip_cuid_bcfb0ecd5318568e
	.section	.bss,"aw",@nobits
	.globl	__hip_cuid_bcfb0ecd5318568e
__hip_cuid_bcfb0ecd5318568e:
	.byte	0                               ; 0x0
	.size	__hip_cuid_bcfb0ecd5318568e, 1

	.ident	"AMD clang version 19.0.0git (https://github.com/RadeonOpenCompute/llvm-project roc-6.4.0 25133 c7fe45cf4b819c5991fe208aaa96edf142730f1d)"
	.section	".note.GNU-stack","",@progbits
	.addrsig
	.addrsig_sym __hip_cuid_bcfb0ecd5318568e
	.amdgpu_metadata
---
amdhsa.kernels:
  - .agpr_count:     148
    .args:
      - .actual_access:  read_only
        .address_space:  global
        .offset:         0
        .size:           8
        .value_kind:     global_buffer
      - .actual_access:  read_only
        .address_space:  global
        .offset:         8
        .size:           8
        .value_kind:     global_buffer
      - .actual_access:  read_only
        .address_space:  global
        .offset:         16
        .size:           8
        .value_kind:     global_buffer
      - .actual_access:  read_only
        .address_space:  global
        .offset:         24
        .size:           8
        .value_kind:     global_buffer
      - .actual_access:  read_only
        .address_space:  global
        .offset:         32
        .size:           8
        .value_kind:     global_buffer
      - .offset:         40
        .size:           8
        .value_kind:     by_value
      - .address_space:  global
        .offset:         48
        .size:           8
        .value_kind:     global_buffer
      - .address_space:  global
        .offset:         56
        .size:           8
        .value_kind:     global_buffer
      - .address_space:  global
        .offset:         64
        .size:           8
        .value_kind:     global_buffer
      - .address_space:  global
        .offset:         72
        .size:           8
        .value_kind:     global_buffer
      - .offset:         80
        .size:           4
        .value_kind:     by_value
      - .address_space:  global
        .offset:         88
        .size:           8
        .value_kind:     global_buffer
      - .address_space:  global
        .offset:         96
        .size:           8
        .value_kind:     global_buffer
    .group_segment_fixed_size: 16184
    .kernarg_segment_align: 8
    .kernarg_segment_size: 104
    .language:       OpenCL C
    .language_version:
      - 2
      - 0
    .max_flat_workgroup_size: 119
    .name:           bluestein_single_fwd_len2023_dim1_sp_op_CI_CI
    .private_segment_fixed_size: 0
    .sgpr_count:     90
    .sgpr_spill_count: 0
    .symbol:         bluestein_single_fwd_len2023_dim1_sp_op_CI_CI.kd
    .uniform_work_group_size: 1
    .uses_dynamic_stack: false
    .vgpr_count:     404
    .vgpr_spill_count: 0
    .wavefront_size: 64
amdhsa.target:   amdgcn-amd-amdhsa--gfx950
amdhsa.version:
  - 1
  - 2
...

	.end_amdgpu_metadata
